;; amdgpu-corpus repo=ROCm/rocFFT kind=compiled arch=gfx1030 opt=O3
	.text
	.amdgcn_target "amdgcn-amd-amdhsa--gfx1030"
	.amdhsa_code_object_version 6
	.protected	fft_rtc_back_len3000_factors_10_3_10_10_wgs_100_tpt_100_halfLds_sp_ip_CI_unitstride_sbrr_C2R_dirReg ; -- Begin function fft_rtc_back_len3000_factors_10_3_10_10_wgs_100_tpt_100_halfLds_sp_ip_CI_unitstride_sbrr_C2R_dirReg
	.globl	fft_rtc_back_len3000_factors_10_3_10_10_wgs_100_tpt_100_halfLds_sp_ip_CI_unitstride_sbrr_C2R_dirReg
	.p2align	8
	.type	fft_rtc_back_len3000_factors_10_3_10_10_wgs_100_tpt_100_halfLds_sp_ip_CI_unitstride_sbrr_C2R_dirReg,@function
fft_rtc_back_len3000_factors_10_3_10_10_wgs_100_tpt_100_halfLds_sp_ip_CI_unitstride_sbrr_C2R_dirReg: ; @fft_rtc_back_len3000_factors_10_3_10_10_wgs_100_tpt_100_halfLds_sp_ip_CI_unitstride_sbrr_C2R_dirReg
; %bb.0:
	s_clause 0x2
	s_load_dwordx4 s[8:11], s[4:5], 0x0
	s_load_dwordx2 s[2:3], s[4:5], 0x50
	s_load_dwordx2 s[12:13], s[4:5], 0x18
	v_mul_u32_u24_e32 v1, 0x290, v0
	v_mov_b32_e32 v3, 0
	v_add_nc_u32_sdwa v5, s6, v1 dst_sel:DWORD dst_unused:UNUSED_PAD src0_sel:DWORD src1_sel:WORD_1
	v_mov_b32_e32 v1, 0
	v_mov_b32_e32 v6, v3
	v_mov_b32_e32 v2, 0
	s_waitcnt lgkmcnt(0)
	v_cmp_lt_u64_e64 s0, s[10:11], 2
	s_and_b32 vcc_lo, exec_lo, s0
	s_cbranch_vccnz .LBB0_8
; %bb.1:
	s_load_dwordx2 s[0:1], s[4:5], 0x10
	v_mov_b32_e32 v1, 0
	s_add_u32 s6, s12, 8
	v_mov_b32_e32 v2, 0
	s_addc_u32 s7, s13, 0
	s_mov_b64 s[16:17], 1
	s_waitcnt lgkmcnt(0)
	s_add_u32 s14, s0, 8
	s_addc_u32 s15, s1, 0
.LBB0_2:                                ; =>This Inner Loop Header: Depth=1
	s_load_dwordx2 s[18:19], s[14:15], 0x0
                                        ; implicit-def: $vgpr7_vgpr8
	s_mov_b32 s0, exec_lo
	s_waitcnt lgkmcnt(0)
	v_or_b32_e32 v4, s19, v6
	v_cmpx_ne_u64_e32 0, v[3:4]
	s_xor_b32 s1, exec_lo, s0
	s_cbranch_execz .LBB0_4
; %bb.3:                                ;   in Loop: Header=BB0_2 Depth=1
	v_cvt_f32_u32_e32 v4, s18
	v_cvt_f32_u32_e32 v7, s19
	s_sub_u32 s0, 0, s18
	s_subb_u32 s20, 0, s19
	v_fmac_f32_e32 v4, 0x4f800000, v7
	v_rcp_f32_e32 v4, v4
	v_mul_f32_e32 v4, 0x5f7ffffc, v4
	v_mul_f32_e32 v7, 0x2f800000, v4
	v_trunc_f32_e32 v7, v7
	v_fmac_f32_e32 v4, 0xcf800000, v7
	v_cvt_u32_f32_e32 v7, v7
	v_cvt_u32_f32_e32 v4, v4
	v_mul_lo_u32 v8, s0, v7
	v_mul_hi_u32 v9, s0, v4
	v_mul_lo_u32 v10, s20, v4
	v_add_nc_u32_e32 v8, v9, v8
	v_mul_lo_u32 v9, s0, v4
	v_add_nc_u32_e32 v8, v8, v10
	v_mul_hi_u32 v10, v4, v9
	v_mul_lo_u32 v11, v4, v8
	v_mul_hi_u32 v12, v4, v8
	v_mul_hi_u32 v13, v7, v9
	v_mul_lo_u32 v9, v7, v9
	v_mul_hi_u32 v14, v7, v8
	v_mul_lo_u32 v8, v7, v8
	v_add_co_u32 v10, vcc_lo, v10, v11
	v_add_co_ci_u32_e32 v11, vcc_lo, 0, v12, vcc_lo
	v_add_co_u32 v9, vcc_lo, v10, v9
	v_add_co_ci_u32_e32 v9, vcc_lo, v11, v13, vcc_lo
	v_add_co_ci_u32_e32 v10, vcc_lo, 0, v14, vcc_lo
	v_add_co_u32 v8, vcc_lo, v9, v8
	v_add_co_ci_u32_e32 v9, vcc_lo, 0, v10, vcc_lo
	v_add_co_u32 v4, vcc_lo, v4, v8
	v_add_co_ci_u32_e32 v7, vcc_lo, v7, v9, vcc_lo
	v_mul_hi_u32 v8, s0, v4
	v_mul_lo_u32 v10, s20, v4
	v_mul_lo_u32 v9, s0, v7
	v_add_nc_u32_e32 v8, v8, v9
	v_mul_lo_u32 v9, s0, v4
	v_add_nc_u32_e32 v8, v8, v10
	v_mul_hi_u32 v10, v4, v9
	v_mul_lo_u32 v11, v4, v8
	v_mul_hi_u32 v12, v4, v8
	v_mul_hi_u32 v13, v7, v9
	v_mul_lo_u32 v9, v7, v9
	v_mul_hi_u32 v14, v7, v8
	v_mul_lo_u32 v8, v7, v8
	v_add_co_u32 v10, vcc_lo, v10, v11
	v_add_co_ci_u32_e32 v11, vcc_lo, 0, v12, vcc_lo
	v_add_co_u32 v9, vcc_lo, v10, v9
	v_add_co_ci_u32_e32 v9, vcc_lo, v11, v13, vcc_lo
	v_add_co_ci_u32_e32 v10, vcc_lo, 0, v14, vcc_lo
	v_add_co_u32 v8, vcc_lo, v9, v8
	v_add_co_ci_u32_e32 v9, vcc_lo, 0, v10, vcc_lo
	v_add_co_u32 v4, vcc_lo, v4, v8
	v_add_co_ci_u32_e32 v11, vcc_lo, v7, v9, vcc_lo
	v_mul_hi_u32 v13, v5, v4
	v_mad_u64_u32 v[9:10], null, v6, v4, 0
	v_mad_u64_u32 v[7:8], null, v5, v11, 0
	;; [unrolled: 1-line block ×3, first 2 shown]
	v_add_co_u32 v4, vcc_lo, v13, v7
	v_add_co_ci_u32_e32 v7, vcc_lo, 0, v8, vcc_lo
	v_add_co_u32 v4, vcc_lo, v4, v9
	v_add_co_ci_u32_e32 v4, vcc_lo, v7, v10, vcc_lo
	v_add_co_ci_u32_e32 v7, vcc_lo, 0, v12, vcc_lo
	v_add_co_u32 v4, vcc_lo, v4, v11
	v_add_co_ci_u32_e32 v9, vcc_lo, 0, v7, vcc_lo
	v_mul_lo_u32 v10, s19, v4
	v_mad_u64_u32 v[7:8], null, s18, v4, 0
	v_mul_lo_u32 v11, s18, v9
	v_sub_co_u32 v7, vcc_lo, v5, v7
	v_add3_u32 v8, v8, v11, v10
	v_sub_nc_u32_e32 v10, v6, v8
	v_subrev_co_ci_u32_e64 v10, s0, s19, v10, vcc_lo
	v_add_co_u32 v11, s0, v4, 2
	v_add_co_ci_u32_e64 v12, s0, 0, v9, s0
	v_sub_co_u32 v13, s0, v7, s18
	v_sub_co_ci_u32_e32 v8, vcc_lo, v6, v8, vcc_lo
	v_subrev_co_ci_u32_e64 v10, s0, 0, v10, s0
	v_cmp_le_u32_e32 vcc_lo, s18, v13
	v_cmp_eq_u32_e64 s0, s19, v8
	v_cndmask_b32_e64 v13, 0, -1, vcc_lo
	v_cmp_le_u32_e32 vcc_lo, s19, v10
	v_cndmask_b32_e64 v14, 0, -1, vcc_lo
	v_cmp_le_u32_e32 vcc_lo, s18, v7
	;; [unrolled: 2-line block ×3, first 2 shown]
	v_cndmask_b32_e64 v15, 0, -1, vcc_lo
	v_cmp_eq_u32_e32 vcc_lo, s19, v10
	v_cndmask_b32_e64 v7, v15, v7, s0
	v_cndmask_b32_e32 v10, v14, v13, vcc_lo
	v_add_co_u32 v13, vcc_lo, v4, 1
	v_add_co_ci_u32_e32 v14, vcc_lo, 0, v9, vcc_lo
	v_cmp_ne_u32_e32 vcc_lo, 0, v10
	v_cndmask_b32_e32 v8, v14, v12, vcc_lo
	v_cndmask_b32_e32 v10, v13, v11, vcc_lo
	v_cmp_ne_u32_e32 vcc_lo, 0, v7
	v_cndmask_b32_e32 v8, v9, v8, vcc_lo
	v_cndmask_b32_e32 v7, v4, v10, vcc_lo
.LBB0_4:                                ;   in Loop: Header=BB0_2 Depth=1
	s_andn2_saveexec_b32 s0, s1
	s_cbranch_execz .LBB0_6
; %bb.5:                                ;   in Loop: Header=BB0_2 Depth=1
	v_cvt_f32_u32_e32 v4, s18
	s_sub_i32 s1, 0, s18
	v_rcp_iflag_f32_e32 v4, v4
	v_mul_f32_e32 v4, 0x4f7ffffe, v4
	v_cvt_u32_f32_e32 v4, v4
	v_mul_lo_u32 v7, s1, v4
	v_mul_hi_u32 v7, v4, v7
	v_add_nc_u32_e32 v4, v4, v7
	v_mul_hi_u32 v4, v5, v4
	v_mul_lo_u32 v7, v4, s18
	v_add_nc_u32_e32 v8, 1, v4
	v_sub_nc_u32_e32 v7, v5, v7
	v_subrev_nc_u32_e32 v9, s18, v7
	v_cmp_le_u32_e32 vcc_lo, s18, v7
	v_cndmask_b32_e32 v7, v7, v9, vcc_lo
	v_cndmask_b32_e32 v4, v4, v8, vcc_lo
	v_cmp_le_u32_e32 vcc_lo, s18, v7
	v_add_nc_u32_e32 v8, 1, v4
	v_cndmask_b32_e32 v7, v4, v8, vcc_lo
	v_mov_b32_e32 v8, v3
.LBB0_6:                                ;   in Loop: Header=BB0_2 Depth=1
	s_or_b32 exec_lo, exec_lo, s0
	s_load_dwordx2 s[0:1], s[6:7], 0x0
	v_mul_lo_u32 v4, v8, s18
	v_mul_lo_u32 v11, v7, s19
	v_mad_u64_u32 v[9:10], null, v7, s18, 0
	s_add_u32 s16, s16, 1
	s_addc_u32 s17, s17, 0
	s_add_u32 s6, s6, 8
	s_addc_u32 s7, s7, 0
	;; [unrolled: 2-line block ×3, first 2 shown]
	v_add3_u32 v4, v10, v11, v4
	v_sub_co_u32 v5, vcc_lo, v5, v9
	v_sub_co_ci_u32_e32 v4, vcc_lo, v6, v4, vcc_lo
	s_waitcnt lgkmcnt(0)
	v_mul_lo_u32 v6, s1, v5
	v_mul_lo_u32 v4, s0, v4
	v_mad_u64_u32 v[1:2], null, s0, v5, v[1:2]
	v_cmp_ge_u64_e64 s0, s[16:17], s[10:11]
	s_and_b32 vcc_lo, exec_lo, s0
	v_add3_u32 v2, v6, v2, v4
	s_cbranch_vccnz .LBB0_9
; %bb.7:                                ;   in Loop: Header=BB0_2 Depth=1
	v_mov_b32_e32 v5, v7
	v_mov_b32_e32 v6, v8
	s_branch .LBB0_2
.LBB0_8:
	v_mov_b32_e32 v8, v6
	v_mov_b32_e32 v7, v5
.LBB0_9:
	s_lshl_b64 s[0:1], s[10:11], 3
	v_mul_hi_u32 v5, 0x28f5c29, v0
	s_add_u32 s0, s12, s0
	s_addc_u32 s1, s13, s1
	s_load_dwordx2 s[0:1], s[0:1], 0x0
	s_load_dwordx2 s[4:5], s[4:5], 0x20
	s_waitcnt lgkmcnt(0)
	v_mul_lo_u32 v3, s0, v8
	v_mul_lo_u32 v4, s1, v7
	v_mad_u64_u32 v[1:2], null, s0, v7, v[1:2]
	v_cmp_gt_u64_e32 vcc_lo, s[4:5], v[7:8]
	v_add3_u32 v2, v4, v2, v3
	v_mul_u32_u24_e32 v3, 0x64, v5
	v_lshlrev_b64 v[54:55], 3, v[1:2]
	v_sub_nc_u32_e32 v52, v0, v3
	s_and_saveexec_b32 s1, vcc_lo
	s_cbranch_execz .LBB0_13
; %bb.10:
	v_mov_b32_e32 v53, 0
	v_add_co_u32 v0, s0, s2, v54
	v_add_co_ci_u32_e64 v1, s0, s3, v55, s0
	v_lshlrev_b64 v[2:3], 3, v[52:53]
	v_lshl_add_u32 v66, v52, 3, 0
	v_add_nc_u32_e32 v67, 0x400, v66
	v_add_co_u32 v2, s0, v0, v2
	v_add_co_ci_u32_e64 v3, s0, v1, v3, s0
	v_add_nc_u32_e32 v68, 0x800, v66
	v_add_co_u32 v4, s0, 0x800, v2
	v_add_co_ci_u32_e64 v5, s0, 0, v3, s0
	v_add_co_u32 v8, s0, 0x1000, v2
	v_add_co_ci_u32_e64 v9, s0, 0, v3, s0
	v_add_co_u32 v16, s0, 0x1800, v2
	v_add_co_ci_u32_e64 v17, s0, 0, v3, s0
	v_add_co_u32 v18, s0, 0x2000, v2
	v_add_co_ci_u32_e64 v19, s0, 0, v3, s0
	v_add_co_u32 v20, s0, 0x2800, v2
	v_add_co_ci_u32_e64 v21, s0, 0, v3, s0
	v_add_co_u32 v22, s0, 0x3000, v2
	v_add_co_ci_u32_e64 v23, s0, 0, v3, s0
	v_add_co_u32 v24, s0, 0x3800, v2
	v_add_co_ci_u32_e64 v25, s0, 0, v3, s0
	v_add_co_u32 v26, s0, 0x4000, v2
	v_add_co_ci_u32_e64 v27, s0, 0, v3, s0
	v_add_co_u32 v28, s0, 0x4800, v2
	v_add_co_ci_u32_e64 v29, s0, 0, v3, s0
	v_add_co_u32 v30, s0, 0x5000, v2
	v_add_co_ci_u32_e64 v31, s0, 0, v3, s0
	s_clause 0x3
	global_load_dwordx2 v[6:7], v[2:3], off
	global_load_dwordx2 v[10:11], v[4:5], off offset:352
	global_load_dwordx2 v[12:13], v[2:3], off offset:1600
	;; [unrolled: 1-line block ×3, first 2 shown]
	v_add_co_u32 v2, s0, 0x5800, v2
	v_add_co_ci_u32_e64 v3, s0, 0, v3, s0
	s_clause 0x19
	global_load_dwordx2 v[32:33], v[4:5], off offset:1152
	global_load_dwordx2 v[4:5], v[4:5], off offset:1952
	;; [unrolled: 1-line block ×26, first 2 shown]
	v_cmp_eq_u32_e64 s0, 0x63, v52
	v_add_nc_u32_e32 v69, 0x1000, v66
	v_add_nc_u32_e32 v70, 0x1800, v66
	;; [unrolled: 1-line block ×12, first 2 shown]
	s_waitcnt vmcnt(27)
	ds_write2_b64 v67, v[12:13], v[10:11] offset0:72 offset1:172
	s_waitcnt vmcnt(24)
	ds_write2_b64 v68, v[32:33], v[4:5] offset0:144 offset1:244
	;; [unrolled: 2-line block ×4, first 2 shown]
	ds_write2_b64 v66, v[6:7], v[14:15] offset1:100
	s_waitcnt vmcnt(18)
	ds_write2_b64 v71, v[16:17], v[40:41] offset0:104 offset1:204
	s_waitcnt vmcnt(16)
	ds_write2_b64 v72, v[18:19], v[42:43] offset0:48 offset1:148
	;; [unrolled: 2-line block ×10, first 2 shown]
	s_and_saveexec_b32 s4, s0
	s_cbranch_execz .LBB0_12
; %bb.11:
	v_add_co_u32 v0, s0, 0x5800, v0
	v_add_co_ci_u32_e64 v1, s0, 0, v1, s0
	v_mov_b32_e32 v52, 0x63
	global_load_dwordx2 v[0:1], v[0:1], off offset:1472
	s_waitcnt vmcnt(0)
	ds_write_b64 v53, v[0:1] offset:24000
.LBB0_12:
	s_or_b32 exec_lo, exec_lo, s4
.LBB0_13:
	s_or_b32 exec_lo, exec_lo, s1
	v_lshlrev_b32_e32 v0, 3, v52
	s_waitcnt lgkmcnt(0)
	s_barrier
	buffer_gl0_inv
	s_add_u32 s1, s8, 0x5d70
	v_add_nc_u32_e32 v64, 0, v0
	v_sub_nc_u32_e32 v4, 0, v0
	s_addc_u32 s4, s9, 0
	s_mov_b32 s5, exec_lo
                                        ; implicit-def: $vgpr2_vgpr3
	ds_read_b32 v5, v64
	ds_read_b32 v6, v4 offset:24000
	s_waitcnt lgkmcnt(0)
	v_add_f32_e32 v0, v6, v5
	v_sub_f32_e32 v1, v5, v6
	v_cmpx_ne_u32_e32 0, v52
	s_xor_b32 s5, exec_lo, s5
	s_cbranch_execz .LBB0_15
; %bb.14:
	v_mov_b32_e32 v53, 0
	v_add_f32_e32 v7, v6, v5
	v_sub_f32_e32 v8, v5, v6
	v_lshlrev_b64 v[0:1], 3, v[52:53]
	v_add_co_u32 v0, s0, s1, v0
	v_add_co_ci_u32_e64 v1, s0, s4, v1, s0
	global_load_dwordx2 v[2:3], v[0:1], off
	ds_read_b32 v0, v4 offset:24004
	ds_read_b32 v1, v64 offset:4
	s_waitcnt lgkmcnt(0)
	v_add_f32_e32 v9, v0, v1
	v_sub_f32_e32 v0, v1, v0
	s_waitcnt vmcnt(0)
	v_fma_f32 v5, -v8, v3, v7
	v_fma_f32 v6, v9, v3, -v0
	v_fma_f32 v10, v8, v3, v7
	v_fma_f32 v1, v9, v3, v0
	v_fmac_f32_e32 v5, v2, v9
	v_fmac_f32_e32 v6, v8, v2
	v_fma_f32 v0, -v2, v9, v10
	v_fmac_f32_e32 v1, v8, v2
	v_mov_b32_e32 v2, v52
	v_mov_b32_e32 v3, v53
	ds_write_b64 v4, v[5:6] offset:24000
.LBB0_15:
	s_andn2_saveexec_b32 s0, s5
	s_cbranch_execz .LBB0_17
; %bb.16:
	v_mov_b32_e32 v7, 0
	ds_read_b64 v[2:3], v7 offset:12000
	s_waitcnt lgkmcnt(0)
	v_add_f32_e32 v5, v2, v2
	v_mul_f32_e32 v6, -2.0, v3
	v_mov_b32_e32 v2, 0
	v_mov_b32_e32 v3, 0
	ds_write_b64 v7, v[5:6] offset:12000
.LBB0_17:
	s_or_b32 exec_lo, exec_lo, s0
	v_lshlrev_b64 v[2:3], 3, v[2:3]
	v_add_nc_u32_e32 v67, 0x1000, v64
	v_add_nc_u32_e32 v68, 0x2400, v64
	;; [unrolled: 1-line block ×5, first 2 shown]
	v_add_co_u32 v2, s0, s1, v2
	v_add_co_ci_u32_e64 v3, s0, s4, v3, s0
	v_add_nc_u32_e32 v74, 0x800, v64
	v_add_co_u32 v9, s0, 0x800, v2
	s_clause 0x1
	global_load_dwordx2 v[5:6], v[2:3], off offset:800
	global_load_dwordx2 v[7:8], v[2:3], off offset:1600
	v_add_co_ci_u32_e64 v10, s0, 0, v3, s0
	v_add_co_u32 v15, s0, 0x1000, v2
	s_clause 0x2
	global_load_dwordx2 v[11:12], v[9:10], off offset:352
	global_load_dwordx2 v[13:14], v[9:10], off offset:1152
	;; [unrolled: 1-line block ×3, first 2 shown]
	v_add_co_ci_u32_e64 v16, s0, 0, v3, s0
	s_clause 0x1
	global_load_dwordx2 v[17:18], v[15:16], off offset:704
	global_load_dwordx2 v[15:16], v[15:16], off offset:1504
	ds_write_b64 v64, v[0:1]
	v_add_co_u32 v0, s0, 0x1800, v2
	v_add_co_ci_u32_e64 v1, s0, 0, v3, s0
	ds_read_b64 v[19:20], v64 offset:800
	ds_read_b64 v[21:22], v4 offset:23200
	v_add_nc_u32_e32 v76, 0x400, v64
	v_add_nc_u32_e32 v75, 0x1800, v64
	global_load_dwordx2 v[23:24], v[0:1], off offset:256
	v_add_nc_u32_e32 v73, 0x2800, v64
	v_add_nc_u32_e32 v70, 0x3000, v64
	;; [unrolled: 1-line block ×6, first 2 shown]
	v_mul_u32_u24_e32 v135, 10, v52
	v_lshl_add_u32 v135, v135, 3, 0
	s_waitcnt lgkmcnt(0)
	v_add_f32_e32 v25, v19, v21
	v_add_f32_e32 v26, v22, v20
	v_sub_f32_e32 v27, v19, v21
	v_sub_f32_e32 v19, v20, v22
	s_waitcnt vmcnt(7)
	v_fma_f32 v28, v27, v6, v25
	v_fma_f32 v20, v26, v6, v19
	v_fma_f32 v21, -v27, v6, v25
	v_fma_f32 v22, v26, v6, -v19
	v_fma_f32 v19, -v5, v26, v28
	v_fmac_f32_e32 v20, v27, v5
	v_fmac_f32_e32 v21, v5, v26
	;; [unrolled: 1-line block ×3, first 2 shown]
	ds_write_b64 v64, v[19:20] offset:800
	ds_write_b64 v4, v[21:22] offset:23200
	ds_read_b64 v[5:6], v64 offset:1600
	ds_read_b64 v[19:20], v4 offset:22400
	global_load_dwordx2 v[21:22], v[0:1], off offset:1056
	s_waitcnt lgkmcnt(0)
	v_add_f32_e32 v25, v5, v19
	v_add_f32_e32 v26, v20, v6
	v_sub_f32_e32 v27, v5, v19
	v_sub_f32_e32 v5, v6, v20
	s_waitcnt vmcnt(7)
	v_fma_f32 v28, v27, v8, v25
	v_fma_f32 v6, v26, v8, v5
	v_fma_f32 v19, -v27, v8, v25
	v_fma_f32 v20, v26, v8, -v5
	v_fma_f32 v5, -v7, v26, v28
	v_fmac_f32_e32 v6, v27, v7
	v_fmac_f32_e32 v19, v7, v26
	;; [unrolled: 1-line block ×3, first 2 shown]
	ds_write_b64 v64, v[5:6] offset:1600
	ds_write_b64 v4, v[19:20] offset:22400
	ds_read_b64 v[5:6], v64 offset:2400
	ds_read_b64 v[7:8], v4 offset:21600
	global_load_dwordx2 v[0:1], v[0:1], off offset:1856
	s_waitcnt lgkmcnt(0)
	v_add_f32_e32 v19, v5, v7
	v_add_f32_e32 v20, v8, v6
	v_sub_f32_e32 v25, v5, v7
	v_sub_f32_e32 v5, v6, v8
	s_waitcnt vmcnt(7)
	v_fma_f32 v26, v25, v12, v19
	v_fma_f32 v6, v20, v12, v5
	v_fma_f32 v7, -v25, v12, v19
	v_fma_f32 v8, v20, v12, -v5
	v_fma_f32 v5, -v11, v20, v26
	v_fmac_f32_e32 v6, v25, v11
	v_fmac_f32_e32 v7, v11, v20
	;; [unrolled: 1-line block ×3, first 2 shown]
	v_add_co_u32 v11, s0, 0x2000, v2
	v_add_co_ci_u32_e64 v12, s0, 0, v3, s0
	ds_write_b64 v64, v[5:6] offset:2400
	ds_write_b64 v4, v[7:8] offset:21600
	ds_read_b64 v[5:6], v64 offset:3200
	ds_read_b64 v[7:8], v4 offset:20800
	v_add_co_u32 v2, s0, 0x2800, v2
	global_load_dwordx2 v[19:20], v[11:12], off offset:608
	v_add_co_ci_u32_e64 v3, s0, 0, v3, s0
	s_waitcnt lgkmcnt(0)
	v_add_f32_e32 v25, v5, v7
	v_add_f32_e32 v26, v8, v6
	v_sub_f32_e32 v27, v5, v7
	v_sub_f32_e32 v5, v6, v8
	s_waitcnt vmcnt(7)
	v_fma_f32 v28, v27, v14, v25
	v_fma_f32 v6, v26, v14, v5
	v_fma_f32 v7, -v27, v14, v25
	v_fma_f32 v8, v26, v14, -v5
	v_fma_f32 v5, -v13, v26, v28
	v_fmac_f32_e32 v6, v27, v13
	v_fmac_f32_e32 v7, v13, v26
	v_fmac_f32_e32 v8, v27, v13
	ds_write_b64 v64, v[5:6] offset:3200
	ds_write_b64 v4, v[7:8] offset:20800
	ds_read_b64 v[5:6], v64 offset:4000
	ds_read_b64 v[7:8], v4 offset:20000
	global_load_dwordx2 v[11:12], v[11:12], off offset:1408
	s_waitcnt lgkmcnt(0)
	v_add_f32_e32 v13, v5, v7
	v_add_f32_e32 v14, v8, v6
	v_sub_f32_e32 v25, v5, v7
	v_sub_f32_e32 v5, v6, v8
	s_waitcnt vmcnt(7)
	v_fma_f32 v26, v25, v10, v13
	v_fma_f32 v6, v14, v10, v5
	v_fma_f32 v7, -v25, v10, v13
	v_fma_f32 v8, v14, v10, -v5
	v_fma_f32 v5, -v9, v14, v26
	v_fmac_f32_e32 v6, v25, v9
	v_fmac_f32_e32 v7, v9, v14
	v_fmac_f32_e32 v8, v25, v9
	ds_write_b64 v64, v[5:6] offset:4000
	ds_write_b64 v4, v[7:8] offset:20000
	ds_read_b64 v[5:6], v64 offset:4800
	ds_read_b64 v[7:8], v4 offset:19200
	global_load_dwordx2 v[9:10], v[2:3], off offset:160
	;; [unrolled: 19-line block ×3, first 2 shown]
	s_waitcnt lgkmcnt(0)
	v_add_f32_e32 v2, v5, v7
	v_add_f32_e32 v17, v8, v6
	v_sub_f32_e32 v7, v5, v7
	v_sub_f32_e32 v6, v6, v8
	s_waitcnt vmcnt(7)
	v_fma_f32 v8, v7, v16, v2
	v_fma_f32 v3, v17, v16, v6
	v_fma_f32 v5, -v7, v16, v2
	v_fma_f32 v6, v17, v16, -v6
	v_fma_f32 v2, -v15, v17, v8
	v_fmac_f32_e32 v3, v7, v15
	v_fmac_f32_e32 v5, v15, v17
	v_fmac_f32_e32 v6, v7, v15
	ds_write_b64 v64, v[2:3] offset:5600
	ds_write_b64 v4, v[5:6] offset:18400
	ds_read_b64 v[2:3], v64 offset:6400
	ds_read_b64 v[5:6], v4 offset:17600
	s_waitcnt lgkmcnt(0)
	v_add_f32_e32 v7, v2, v5
	v_add_f32_e32 v8, v6, v3
	v_sub_f32_e32 v15, v2, v5
	v_sub_f32_e32 v2, v3, v6
	s_waitcnt vmcnt(6)
	v_fma_f32 v16, v15, v24, v7
	v_fma_f32 v3, v8, v24, v2
	v_fma_f32 v5, -v15, v24, v7
	v_fma_f32 v6, v8, v24, -v2
	v_fma_f32 v2, -v23, v8, v16
	v_fmac_f32_e32 v3, v15, v23
	v_fmac_f32_e32 v5, v23, v8
	v_fmac_f32_e32 v6, v15, v23
	ds_write_b64 v64, v[2:3] offset:6400
	ds_write_b64 v4, v[5:6] offset:17600
	ds_read_b64 v[2:3], v64 offset:7200
	ds_read_b64 v[5:6], v4 offset:16800
	;; [unrolled: 18-line block ×7, first 2 shown]
	s_waitcnt lgkmcnt(0)
	v_add_f32_e32 v5, v0, v2
	v_add_f32_e32 v6, v3, v1
	v_sub_f32_e32 v7, v0, v2
	v_sub_f32_e32 v1, v1, v3
	s_waitcnt vmcnt(0)
	v_fma_f32 v2, v7, v14, v5
	v_fma_f32 v3, v6, v14, v1
	v_fma_f32 v0, -v7, v14, v5
	v_fma_f32 v1, v6, v14, -v1
	v_fma_f32 v2, -v13, v6, v2
	v_fmac_f32_e32 v3, v7, v13
	v_fmac_f32_e32 v0, v13, v6
	;; [unrolled: 1-line block ×3, first 2 shown]
	ds_write_b64 v64, v[2:3] offset:11200
	ds_write_b64 v4, v[0:1] offset:12800
	s_waitcnt lgkmcnt(0)
	s_barrier
	buffer_gl0_inv
	s_barrier
	buffer_gl0_inv
	ds_read2_b64 v[18:21], v67 offset0:88 offset1:188
	ds_read2_b64 v[34:37], v68 offset0:48 offset1:148
	;; [unrolled: 1-line block ×4, first 2 shown]
	ds_read2_b64 v[0:3], v64 offset1:100
	ds_read2_b64 v[124:127], v65 offset0:104 offset1:204
	ds_read2_b64 v[8:11], v74 offset0:144 offset1:244
	;; [unrolled: 1-line block ×10, first 2 shown]
	s_waitcnt lgkmcnt(0)
	s_barrier
	buffer_gl0_inv
	v_add_f32_e32 v101, v9, v125
	v_add_f32_e32 v103, v10, v126
	v_add_f32_e32 v82, v6, v89
	v_add_f32_e32 v83, v7, v90
	v_sub_f32_e32 v105, v20, v36
	v_sub_f32_e32 v131, v21, v37
	v_add_f32_e32 v43, v36, v40
	v_add_f32_e32 v45, v2, v20
	v_add_f32_e32 v56, v3, v21
	v_add_f32_e32 v57, v0, v18
	v_add_f32_e32 v59, v1, v19
	v_add_f32_e32 v137, v37, v41
	v_sub_f32_e32 v24, v37, v41
	v_sub_f32_e32 v23, v36, v40
	;; [unrolled: 1-line block ×4, first 2 shown]
	v_add_f32_e32 v46, v34, v38
	v_sub_f32_e32 v17, v35, v39
	v_sub_f32_e32 v128, v18, v34
	;; [unrolled: 1-line block ×3, first 2 shown]
	v_add_f32_e32 v48, v35, v39
	v_sub_f32_e32 v16, v34, v38
	v_sub_f32_e32 v116, v19, v35
	;; [unrolled: 1-line block ×3, first 2 shown]
	v_add_f32_e32 v94, v5, v88
	v_add_f32_e32 v36, v45, v36
	;; [unrolled: 1-line block ×6, first 2 shown]
	v_sub_f32_e32 v31, v21, v112
	v_add_f32_e32 v153, v21, v112
	v_sub_f32_e32 v130, v109, v38
	v_sub_f32_e32 v80, v38, v109
	;; [unrolled: 1-line block ×7, first 2 shown]
	v_add_f32_e32 v91, v88, v141
	v_add_f32_e32 v57, v8, v124
	;; [unrolled: 1-line block ×8, first 2 shown]
	v_sub_f32_e32 v129, v111, v40
	v_sub_f32_e32 v132, v112, v41
	;; [unrolled: 1-line block ×4, first 2 shown]
	v_add_f32_e32 v93, v4, v87
	v_add_f32_e32 v61, v89, v142
	v_sub_f32_e32 v32, v89, v142
	v_sub_f32_e32 v123, v142, v121
	;; [unrolled: 1-line block ×3, first 2 shown]
	v_add_f32_e32 v36, v36, v40
	v_sub_f32_e32 v41, v125, v145
	v_add_f32_e32 v40, v82, v122
	v_add_f32_e32 v113, v88, v120
	;; [unrolled: 1-line block ×7, first 2 shown]
	v_sub_f32_e32 v142, v13, v149
	v_sub_f32_e32 v30, v20, v111
	v_add_f32_e32 v47, v20, v111
	v_sub_f32_e32 v44, v90, v99
	v_sub_f32_e32 v107, v143, v122
	v_add_f32_e32 v83, v93, v96
	v_sub_f32_e32 v154, v124, v144
	v_add_f32_e32 v93, v36, v111
	v_add_f32_e32 v115, v103, v146
	;; [unrolled: 1-line block ×3, first 2 shown]
	v_sub_f32_e32 v40, v12, v148
	v_add_f32_e32 v111, v37, v148
	v_add_f32_e32 v37, v131, v132
	v_add_f32_e32 v132, v41, v142
	v_add_nc_u16 v41, v52, 0x64
	v_add_f32_e32 v49, v18, v109
	v_sub_f32_e32 v26, v18, v109
	v_sub_f32_e32 v86, v99, v90
	;; [unrolled: 1-line block ×4, first 2 shown]
	v_add_f32_e32 v62, v90, v143
	v_sub_f32_e32 v90, v119, v140
	v_sub_f32_e32 v139, v144, v124
	;; [unrolled: 1-line block ×3, first 2 shown]
	v_add_f32_e32 v109, v124, v12
	v_add_f32_e32 v112, v38, v149
	;; [unrolled: 1-line block ×4, first 2 shown]
	v_add_nc_u32_e32 v40, 0xc8, v52
	v_mov_b32_e32 v129, 0xcccd
	v_add_f32_e32 v107, v44, v107
	v_and_b32_e32 v44, 0xff, v41
	v_sub_f32_e32 v20, v97, v120
	v_add_f32_e32 v95, v97, v120
	v_add_f32_e32 v97, v145, v149
	;; [unrolled: 1-line block ×3, first 2 shown]
	v_mul_u32_u24_sdwa v42, v40, v129 dst_sel:DWORD dst_unused:UNUSED_PAD src0_sel:WORD_0 src1_sel:DWORD
	v_add_f32_e32 v78, v78, v90
	v_mul_lo_u16 v90, 0xcd, v44
	v_add_f32_e32 v58, v98, v121
	v_sub_f32_e32 v18, v99, v122
	v_sub_f32_e32 v117, v89, v98
	v_sub_f32_e32 v85, v98, v89
	v_add_f32_e32 v60, v99, v122
	v_sub_f32_e32 v28, v98, v121
	v_add_f32_e32 v25, v96, v119
	v_sub_f32_e32 v79, v87, v96
	v_sub_f32_e32 v22, v96, v119
	v_add_f32_e32 v98, v11, v127
	v_add_f32_e32 v96, v144, v148
	;; [unrolled: 1-line block ×4, first 2 shown]
	v_lshrrev_b32_e32 v51, 19, v42
	v_lshrrev_b16 v42, 11, v90
	v_fma_f32 v90, -0.5, v97, v9
	v_fma_f32 v97, -0.5, v43, v2
	;; [unrolled: 1-line block ×3, first 2 shown]
	v_sub_f32_e32 v27, v19, v110
	v_add_f32_e32 v50, v19, v110
	v_add_f32_e32 v29, v87, v140
	v_sub_f32_e32 v19, v87, v140
	v_sub_f32_e32 v92, v140, v119
	;; [unrolled: 1-line block ×5, first 2 shown]
	v_add_f32_e32 v119, v98, v147
	v_add_f32_e32 v98, v99, v140
	;; [unrolled: 1-line block ×3, first 2 shown]
	v_sub_f32_e32 v141, v148, v12
	v_fma_f32 v96, -0.5, v96, v8
	v_fma_f32 v109, -0.5, v109, v8
	;; [unrolled: 1-line block ×4, first 2 shown]
	v_add_f32_e32 v6, v111, v12
	v_add_f32_e32 v8, v88, v101
	v_sub_f32_e32 v12, v88, v101
	v_fmamk_f32 v88, v24, 0x3f737871, v2
	v_fmac_f32_e32 v2, 0xbf737871, v24
	v_add_f32_e32 v89, v35, v110
	v_sub_f32_e32 v106, v127, v147
	v_sub_f32_e32 v83, v125, v13
	v_add_f32_e32 v110, v125, v13
	v_add_f32_e32 v113, v115, v150
	;; [unrolled: 1-line block ×3, first 2 shown]
	v_sub_f32_e32 v119, v15, v151
	v_fma_f32 v131, -0.5, v137, v3
	v_fmac_f32_e32 v3, -0.5, v153
	v_fmamk_f32 v111, v31, 0xbf737871, v97
	v_fmac_f32_e32 v97, 0x3f737871, v31
	v_fmac_f32_e32 v88, 0xbf167918, v31
	;; [unrolled: 1-line block ×3, first 2 shown]
	v_fmamk_f32 v31, v56, 0x3f737871, v109
	v_fmac_f32_e32 v109, 0xbf737871, v56
	v_sub_f32_e32 v59, v144, v148
	v_sub_f32_e32 v140, v149, v13
	v_fma_f32 v110, -0.5, v110, v9
	v_fma_f32 v60, -0.5, v60, v7
	v_fma_f32 v142, -0.5, v46, v0
	v_fma_f32 v62, -0.5, v62, v7
	v_add_f32_e32 v106, v106, v119
	v_fmamk_f32 v119, v83, 0xbf737871, v96
	v_add_f32_e32 v7, v112, v13
	v_add_f32_e32 v9, v89, v103
	v_sub_f32_e32 v13, v89, v103
	v_fmamk_f32 v89, v23, 0xbf737871, v3
	v_fmac_f32_e32 v3, 0x3f737871, v23
	v_fmac_f32_e32 v96, 0x3f737871, v83
	;; [unrolled: 1-line block ×4, first 2 shown]
	v_fmamk_f32 v83, v82, 0x3f737871, v90
	v_fmac_f32_e32 v90, 0xbf737871, v82
	v_add_f32_e32 v45, v146, v150
	v_fma_f32 v49, -0.5, v49, v0
	v_fmamk_f32 v112, v30, 0x3f737871, v131
	v_fmac_f32_e32 v131, 0xbf737871, v30
	v_fmac_f32_e32 v89, 0x3f167918, v30
	;; [unrolled: 1-line block ×3, first 2 shown]
	v_fmamk_f32 v30, v59, 0xbf737871, v110
	v_fmac_f32_e32 v110, 0x3f737871, v59
	v_fmac_f32_e32 v83, 0x3f167918, v59
	;; [unrolled: 1-line block ×3, first 2 shown]
	v_fmamk_f32 v59, v27, 0xbf737871, v142
	v_fmac_f32_e32 v142, 0x3f737871, v27
	v_sub_f32_e32 v104, v122, v143
	v_sub_f32_e32 v138, v145, v125
	v_add_f32_e32 v120, v147, v151
	v_add_f32_e32 v125, v127, v15
	v_fma_f32 v143, -0.5, v48, v1
	v_fma_f32 v50, -0.5, v50, v1
	v_add_f32_e32 v1, v94, v7
	v_sub_f32_e32 v7, v94, v7
	v_fmamk_f32 v94, v17, 0x3f737871, v49
	v_fmac_f32_e32 v49, 0xbf737871, v17
	v_fmac_f32_e32 v59, 0xbf167918, v17
	;; [unrolled: 1-line block ×3, first 2 shown]
	v_fma_f32 v17, -0.5, v45, v10
	v_fma_f32 v45, -0.5, v25, v4
	;; [unrolled: 1-line block ×3, first 2 shown]
	v_fmac_f32_e32 v5, -0.5, v91
	v_sub_f32_e32 v35, v146, v150
	v_add_f32_e32 v57, v126, v14
	v_fma_f32 v120, -0.5, v120, v11
	v_fmac_f32_e32 v11, -0.5, v125
	v_fmac_f32_e32 v119, 0xbf167918, v56
	v_fmac_f32_e32 v96, 0x3f167918, v56
	v_fmamk_f32 v56, v16, 0xbf737871, v50
	v_fmac_f32_e32 v50, 0x3f737871, v16
	v_fma_f32 v4, -0.5, v29, v4
	v_fmamk_f32 v101, v21, 0xbf737871, v45
	v_fmac_f32_e32 v45, 0x3f737871, v21
	v_sub_f32_e32 v39, v127, v15
	v_sub_f32_e32 v36, v126, v14
	v_add_f32_e32 v46, v115, v15
	v_add_f32_e32 v0, v93, v6
	v_sub_f32_e32 v6, v93, v6
	v_fmamk_f32 v93, v26, 0x3f737871, v143
	v_fmac_f32_e32 v143, 0xbf737871, v26
	v_fmamk_f32 v115, v22, 0xbf737871, v5
	v_fmac_f32_e32 v5, 0x3f737871, v22
	v_sub_f32_e32 v34, v147, v151
	v_sub_f32_e32 v121, v147, v127
	;; [unrolled: 1-line block ×3, first 2 shown]
	v_fmac_f32_e32 v30, 0x3f167918, v82
	v_fmac_f32_e32 v110, 0xbf167918, v82
	v_fmamk_f32 v82, v33, 0xbf737871, v58
	v_fmac_f32_e32 v111, 0xbf167918, v24
	v_fmac_f32_e32 v97, 0x3f167918, v24
	;; [unrolled: 1-line block ×4, first 2 shown]
	v_fmamk_f32 v24, v28, 0xbf737871, v62
	v_fmac_f32_e32 v62, 0x3f737871, v28
	v_fmac_f32_e32 v58, 0x3f737871, v33
	v_fmamk_f32 v26, v32, 0x3f737871, v60
	v_fmac_f32_e32 v60, 0xbf737871, v32
	v_fma_f32 v10, -0.5, v57, v10
	v_fmamk_f32 v103, v20, 0x3f737871, v4
	v_fmac_f32_e32 v4, 0xbf737871, v20
	v_fmac_f32_e32 v101, 0xbf167918, v20
	;; [unrolled: 1-line block ×3, first 2 shown]
	v_fmamk_f32 v20, v35, 0xbf737871, v11
	v_fmac_f32_e32 v11, 0x3f737871, v35
	v_sub_f32_e32 v108, v126, v146
	v_sub_f32_e32 v122, v14, v150
	v_add_f32_e32 v43, v113, v14
	v_fmac_f32_e32 v93, 0x3f167918, v16
	v_fmac_f32_e32 v143, 0xbf167918, v16
	v_fmamk_f32 v113, v19, 0x3f737871, v95
	v_fmac_f32_e32 v95, 0xbf737871, v19
	v_fmamk_f32 v16, v39, 0xbf737871, v17
	v_fmac_f32_e32 v5, 0xbf167918, v19
	v_fmac_f32_e32 v115, 0x3f167918, v19
	v_fmamk_f32 v19, v36, 0x3f737871, v120
	v_fmac_f32_e32 v120, 0xbf737871, v36
	v_add_f32_e32 v140, v138, v140
	v_sub_f32_e32 v114, v146, v126
	v_sub_f32_e32 v126, v150, v14
	v_add_f32_e32 v117, v117, v123
	v_add_f32_e32 v86, v86, v104
	;; [unrolled: 1-line block ×3, first 2 shown]
	v_fmac_f32_e32 v112, 0x3f167918, v23
	v_fmac_f32_e32 v131, 0xbf167918, v23
	v_fmamk_f32 v23, v18, 0x3f737871, v61
	v_fmac_f32_e32 v61, 0xbf737871, v18
	v_fmac_f32_e32 v24, 0x3f167918, v32
	;; [unrolled: 1-line block ×7, first 2 shown]
	v_fmamk_f32 v18, v34, 0x3f737871, v10
	v_fmac_f32_e32 v10, 0xbf737871, v34
	v_fmac_f32_e32 v11, 0xbf167918, v36
	v_add_f32_e32 v108, v108, v122
	v_fmac_f32_e32 v17, 0x3f737871, v39
	v_fmac_f32_e32 v16, 0xbf167918, v34
	;; [unrolled: 1-line block ×7, first 2 shown]
	v_add_f32_e32 v139, v139, v141
	v_add_f32_e32 v63, v63, v87
	v_fmac_f32_e32 v94, 0xbf167918, v27
	v_fmac_f32_e32 v49, 0x3f167918, v27
	v_mul_lo_u16 v27, v42, 10
	v_fmac_f32_e32 v113, 0x3f167918, v22
	v_fmac_f32_e32 v95, 0xbf167918, v22
	;; [unrolled: 1-line block ×5, first 2 shown]
	v_add_f32_e32 v85, v85, v102
	v_add_f32_e32 v114, v114, v126
	v_fmac_f32_e32 v23, 0xbf167918, v33
	v_fmac_f32_e32 v61, 0x3f167918, v33
	;; [unrolled: 1-line block ×11, first 2 shown]
	v_add_f32_e32 v84, v84, v100
	v_add_f32_e32 v79, v79, v92
	v_fmac_f32_e32 v17, 0x3f167918, v34
	v_fmac_f32_e32 v18, 0xbf167918, v39
	;; [unrolled: 1-line block ×6, first 2 shown]
	v_mul_f32_e32 v22, 0xbf167918, v83
	v_mul_f32_e32 v25, 0x3f167918, v119
	v_add_f32_e32 v136, v136, v152
	v_add_f32_e32 v137, v133, v134
	;; [unrolled: 1-line block ×3, first 2 shown]
	v_sub_f32_e32 v47, v98, v43
	v_sub_nc_u16 v43, v41, v27
	v_fmac_f32_e32 v31, 0x3e9e377a, v139
	v_fmac_f32_e32 v109, 0x3e9e377a, v139
	;; [unrolled: 1-line block ×4, first 2 shown]
	v_mul_f32_e32 v27, 0xbf737871, v30
	v_mul_f32_e32 v28, 0x3e9e377a, v30
	;; [unrolled: 1-line block ×4, first 2 shown]
	v_fmac_f32_e32 v96, 0x3e9e377a, v124
	v_fmac_f32_e32 v94, 0x3e9e377a, v80
	;; [unrolled: 1-line block ×5, first 2 shown]
	v_mul_f32_e32 v80, 0xbf167918, v90
	v_mul_f32_e32 v81, 0xbf4f1bbd, v90
	v_add_f32_e32 v128, v128, v130
	v_add_f32_e32 v116, v116, v118
	v_fmac_f32_e32 v111, 0x3e9e377a, v38
	v_fmac_f32_e32 v97, 0x3e9e377a, v38
	;; [unrolled: 1-line block ×8, first 2 shown]
	v_mul_f32_e32 v78, 0xbf737871, v11
	v_mul_f32_e32 v30, 0xbf167918, v26
	;; [unrolled: 1-line block ×7, first 2 shown]
	v_add_nc_u32_e32 v134, 0x190, v52
	v_fmac_f32_e32 v112, 0x3e9e377a, v37
	v_fmac_f32_e32 v101, 0x3e9e377a, v79
	;; [unrolled: 1-line block ×7, first 2 shown]
	v_mul_f32_e32 v79, 0xbe9e377a, v11
	v_mul_f32_e32 v34, 0xbf737871, v24
	;; [unrolled: 1-line block ×9, first 2 shown]
	v_fmac_f32_e32 v22, 0x3f4f1bbd, v119
	v_fmac_f32_e32 v25, 0x3f4f1bbd, v83
	;; [unrolled: 1-line block ×22, first 2 shown]
	v_add_nc_u32_e32 v138, 0x1f4, v52
	v_mul_u32_u24_sdwa v102, v134, v129 dst_sel:DWORD dst_unused:UNUSED_PAD src0_sel:WORD_0 src1_sel:DWORD
	v_add_nc_u32_e32 v104, 0x1f40, v135
	v_fmac_f32_e32 v143, 0x3e9e377a, v116
	v_fmac_f32_e32 v34, 0x3e9e377a, v23
	v_fmac_f32_e32 v39, 0x3f737871, v61
	v_fmac_f32_e32 v60, 0x3f167918, v58
	v_fmac_f32_e32 v79, 0x3f737871, v10
	v_fmac_f32_e32 v84, 0x3f4f1bbd, v16
	v_fmac_f32_e32 v85, 0x3f4f1bbd, v19
	v_fmac_f32_e32 v86, 0x3e9e377a, v18
	v_fmac_f32_e32 v90, 0x3f737871, v18
	v_fmac_f32_e32 v106, 0xbf4f1bbd, v17
	v_fmac_f32_e32 v107, 0x3f167918, v17
	v_add_f32_e32 v10, v111, v22
	v_add_f32_e32 v11, v112, v25
	v_add_nc_u32_e32 v125, 0x1f50, v135
	v_add_f32_e32 v16, v88, v27
	v_add_f32_e32 v17, v89, v28
	;; [unrolled: 1-line block ×4, first 2 shown]
	v_add_nc_u32_e32 v127, 0x1f60, v135
	v_add_f32_e32 v20, v97, v80
	v_add_f32_e32 v21, v131, v81
	v_add_nc_u32_e32 v91, 0x1f70, v135
	v_sub_f32_e32 v22, v111, v22
	v_sub_f32_e32 v23, v112, v25
	;; [unrolled: 1-line block ×4, first 2 shown]
	v_add_f32_e32 v26, v59, v30
	v_add_f32_e32 v27, v93, v32
	;; [unrolled: 1-line block ×3, first 2 shown]
	v_sub_f32_e32 v31, v93, v32
	v_add_f32_e32 v32, v49, v38
	v_sub_f32_e32 v35, v56, v35
	v_sub_f32_e32 v38, v49, v38
	;; [unrolled: 1-line block ×3, first 2 shown]
	v_add_f32_e32 v56, v4, v78
	v_sub_f32_e32 v4, v4, v78
	v_add_nc_u32_e32 v100, 0x1f80, v135
	v_add_nc_u32_e32 v126, 0x3e80, v135
	;; [unrolled: 1-line block ×5, first 2 shown]
	v_add_f32_e32 v15, v99, v46
	v_sub_f32_e32 v48, v99, v46
	v_add_nc_u32_e32 v98, 0x3ec0, v135
	v_add_f32_e32 v28, v94, v34
	v_sub_f32_e32 v30, v59, v30
	v_add_f32_e32 v33, v50, v39
	v_sub_f32_e32 v34, v94, v34
	v_add_f32_e32 v36, v142, v62
	v_add_f32_e32 v37, v143, v60
	v_sub_f32_e32 v39, v50, v39
	v_sub_f32_e32 v50, v143, v60
	;; [unrolled: 1-line block ×3, first 2 shown]
	v_add_f32_e32 v57, v5, v79
	v_sub_f32_e32 v5, v5, v79
	v_sub_f32_e32 v2, v2, v63
	;; [unrolled: 1-line block ×4, first 2 shown]
	v_add_f32_e32 v60, v101, v84
	v_add_f32_e32 v61, v113, v85
	v_sub_f32_e32 v62, v101, v84
	v_sub_f32_e32 v63, v113, v85
	v_add_f32_e32 v78, v103, v86
	v_add_f32_e32 v79, v115, v90
	v_sub_f32_e32 v80, v103, v86
	v_sub_f32_e32 v81, v115, v90
	;; [unrolled: 4-line block ×3, first 2 shown]
	ds_write2_b64 v104, v[0:1], v[10:11] offset1:1
	ds_write2_b64 v125, v[16:17], v[18:19] offset1:1
	;; [unrolled: 1-line block ×5, first 2 shown]
	ds_write2_b64 v135, v[28:29], v[32:33] offset0:2 offset1:3
	ds_write2_b64 v135, v[36:37], v[12:13] offset0:4 offset1:5
	;; [unrolled: 1-line block ×4, first 2 shown]
	ds_write2_b64 v100, v[2:3], v[58:59] offset1:1
	ds_write2_b64 v126, v[14:15], v[60:61] offset1:1
	;; [unrolled: 1-line block ×6, first 2 shown]
	v_mul_u32_u24_sdwa v4, v138, v129 dst_sel:DWORD dst_unused:UNUSED_PAD src0_sel:WORD_0 src1_sel:DWORD
	v_lshrrev_b32_e32 v49, 19, v102
	v_add_nc_u32_e32 v133, 0x12c, v52
	v_add_nc_u32_e32 v123, 0x320, v52
	;; [unrolled: 1-line block ×3, first 2 shown]
	v_lshrrev_b32_e32 v80, 19, v4
	v_mul_lo_u16 v4, v49, 10
	v_mul_u32_u24_sdwa v141, v133, v129 dst_sel:DWORD dst_unused:UNUSED_PAD src0_sel:WORD_0 src1_sel:DWORD
	v_mul_lo_u16 v99, v51, 10
	v_mov_b32_e32 v105, 4
	v_add_nc_u32_e32 v130, 0x258, v52
	v_sub_nc_u16 v50, v134, v4
	v_mul_u32_u24_sdwa v4, v123, v129 dst_sel:DWORD dst_unused:UNUSED_PAD src0_sel:WORD_0 src1_sel:DWORD
	v_lshrrev_b32_e32 v46, 19, v141
	v_sub_nc_u16 v45, v40, v99
	s_waitcnt lgkmcnt(0)
	s_barrier
	v_lshrrev_b32_e32 v85, 19, v4
	v_mul_lo_u16 v5, v46, 10
	v_lshlrev_b32_sdwa v6, v105, v45 dst_sel:DWORD dst_unused:UNUSED_PAD src0_sel:DWORD src1_sel:WORD_0
	buffer_gl0_inv
	v_mul_u32_u24_sdwa v7, v130, v129 dst_sel:DWORD dst_unused:UNUSED_PAD src0_sel:WORD_0 src1_sel:DWORD
	v_mul_lo_u16 v13, v85, 10
	v_sub_nc_u16 v47, v133, v5
	v_mul_u32_u24_sdwa v5, v118, v129 dst_sel:DWORD dst_unused:UNUSED_PAD src0_sel:WORD_0 src1_sel:DWORD
	global_load_dwordx4 v[36:39], v6, s[8:9]
	v_lshrrev_b32_e32 v82, 19, v7
	v_sub_nc_u16 v61, v123, v13
	v_and_b32_e32 v48, 0xff, v52
	v_lshrrev_b32_e32 v84, 19, v5
	v_lshlrev_b32_sdwa v8, v105, v47 dst_sel:DWORD dst_unused:UNUSED_PAD src0_sel:DWORD src1_sel:WORD_0
	v_mul_lo_u16 v7, v82, 10
	v_lshlrev_b32_sdwa v13, v105, v61 dst_sel:DWORD dst_unused:UNUSED_PAD src0_sel:DWORD src1_sel:WORD_0
	v_add_nc_u32_e32 v12, 0x384, v52
	v_mul_lo_u16 v9, v84, 10
	global_load_dwordx4 v[32:35], v8, s[8:9]
	v_sub_nc_u16 v57, v130, v7
	global_load_dwordx4 v[24:27], v13, s[8:9]
	v_mul_lo_u16 v6, v80, 10
	v_sub_nc_u16 v58, v118, v9
	v_lshlrev_b32_sdwa v141, v105, v43 dst_sel:DWORD dst_unused:UNUSED_PAD src0_sel:DWORD src1_sel:BYTE_0
	v_mul_u32_u24_sdwa v14, v12, v129 dst_sel:DWORD dst_unused:UNUSED_PAD src0_sel:WORD_0 src1_sel:DWORD
	v_mov_b32_e32 v78, 0x8889
	v_sub_nc_u16 v56, v138, v6
	v_lshlrev_b32_sdwa v6, v105, v50 dst_sel:DWORD dst_unused:UNUSED_PAD src0_sel:DWORD src1_sel:WORD_0
	v_lshlrev_b32_sdwa v16, v105, v58 dst_sel:DWORD dst_unused:UNUSED_PAD src0_sel:DWORD src1_sel:WORD_0
	global_load_dwordx4 v[0:3], v141, s[8:9]
	v_lshrrev_b32_e32 v83, 19, v14
	v_lshlrev_b32_sdwa v5, v105, v56 dst_sel:DWORD dst_unused:UNUSED_PAD src0_sel:DWORD src1_sel:WORD_0
	s_clause 0x1
	global_load_dwordx4 v[28:31], v6, s[8:9]
	global_load_dwordx4 v[20:23], v16, s[8:9]
	v_mul_lo_u16 v44, 0x89, v44
	v_mul_lo_u16 v14, v83, 10
	global_load_dwordx4 v[4:7], v5, s[8:9]
	v_mul_lo_u16 v8, 0xcd, v48
	v_mul_lo_u16 v48, 0x89, v48
	v_mov_b32_e32 v87, 0xf0
	v_sub_nc_u16 v63, v12, v14
	v_mul_u32_u24_sdwa v79, v40, v78 dst_sel:DWORD dst_unused:UNUSED_PAD src0_sel:WORD_0 src1_sel:DWORD
	v_lshrrev_b16 v86, 11, v8
	v_lshlrev_b32_sdwa v8, v105, v57 dst_sel:DWORD dst_unused:UNUSED_PAD src0_sel:DWORD src1_sel:WORD_0
	v_lshrrev_b16 v48, 12, v48
	v_lshlrev_b32_sdwa v12, v105, v63 dst_sel:DWORD dst_unused:UNUSED_PAD src0_sel:DWORD src1_sel:WORD_0
	v_mov_b32_e32 v78, 3
	v_mul_lo_u16 v15, v86, 10
	global_load_dwordx4 v[8:11], v8, s[8:9]
	v_mul_u32_u24_e32 v89, 0xf0, v80
	v_lshrrev_b16 v80, 12, v44
	v_mul_lo_u16 v44, v48, 30
	v_sub_nc_u16 v81, v52, v15
	v_add_nc_u32_e32 v62, 0x2000, v64
	v_mul_u32_u24_sdwa v86, v86, v87 dst_sel:DWORD dst_unused:UNUSED_PAD src0_sel:WORD_0 src1_sel:DWORD
	v_mul_u32_u24_e32 v88, 0xf0, v49
	v_mul_u32_u24_e32 v82, 0xf0, v82
	v_lshlrev_b32_sdwa v15, v105, v81 dst_sel:DWORD dst_unused:UNUSED_PAD src0_sel:DWORD src1_sel:BYTE_0
	v_mul_u32_u24_sdwa v87, v42, v87 dst_sel:DWORD dst_unused:UNUSED_PAD src0_sel:WORD_0 src1_sel:DWORD
	v_mul_lo_u16 v42, v80, 30
	v_sub_nc_u16 v49, v52, v44
	v_lshlrev_b32_sdwa v44, v78, v81 dst_sel:DWORD dst_unused:UNUSED_PAD src0_sel:DWORD src1_sel:BYTE_0
	s_clause 0x1
	global_load_dwordx4 v[16:19], v15, s[8:9]
	global_load_dwordx4 v[12:15], v12, s[8:9]
	v_lshlrev_b32_sdwa v57, v78, v57 dst_sel:DWORD dst_unused:UNUSED_PAD src0_sel:DWORD src1_sel:WORD_0
	v_mul_u32_u24_e32 v91, 0xf0, v84
	v_mul_u32_u24_e32 v92, 0xf0, v85
	;; [unrolled: 1-line block ×3, first 2 shown]
	v_sub_nc_u16 v81, v41, v42
	v_add3_u32 v124, 0, v86, v44
	v_lshlrev_b32_sdwa v86, v78, v43 dst_sel:DWORD dst_unused:UNUSED_PAD src0_sel:DWORD src1_sel:BYTE_0
	ds_read2_b64 v[41:44], v62 offset0:76 offset1:176
	v_add3_u32 v128, 0, v82, v57
	ds_read2_b64 v[82:85], v69 offset0:52 offset1:152
	v_mov_b32_e32 v122, 9
	v_mul_u32_u24_e32 v51, 0xf0, v51
	v_mul_u32_u24_e32 v46, 0xf0, v46
	v_lshlrev_b32_sdwa v45, v78, v45 dst_sel:DWORD dst_unused:UNUSED_PAD src0_sel:DWORD src1_sel:WORD_0
	v_lshlrev_b32_sdwa v47, v78, v47 dst_sel:DWORD dst_unused:UNUSED_PAD src0_sel:DWORD src1_sel:WORD_0
	;; [unrolled: 1-line block ×7, first 2 shown]
	v_mul_u32_u24_sdwa v95, v49, v122 dst_sel:DWORD dst_unused:UNUSED_PAD src0_sel:BYTE_0 src1_sel:DWORD
	v_add_nc_u32_e32 v60, 0x4400, v64
	v_add_nc_u32_e32 v59, 0x2c00, v64
	;; [unrolled: 1-line block ×4, first 2 shown]
	v_add3_u32 v125, 0, v51, v45
	v_add3_u32 v47, 0, v46, v47
	;; [unrolled: 1-line block ×7, first 2 shown]
	v_lshlrev_b32_e32 v132, 3, v95
	v_add3_u32 v133, 0, v87, v86
	ds_read2_b64 v[86:89], v73 offset0:20 offset1:120
	ds_read2_b64 v[60:63], v60 offset0:124 offset1:224
	;; [unrolled: 1-line block ×6, first 2 shown]
	ds_read2_b32 v[45:46], v65 offset0:208 offset1:209
	ds_read2_b64 v[102:105], v66 offset0:108 offset1:208
	ds_read_b64 v[50:51], v64 offset:23200
	ds_read2_b64 v[106:109], v64 offset1:100
	ds_read2_b64 v[110:113], v76 offset0:72 offset1:172
	ds_read2_b64 v[114:117], v74 offset0:144 offset1:244
	;; [unrolled: 1-line block ×3, first 2 shown]
	v_lshrrev_b32_e32 v79, 20, v79
	v_lshlrev_b32_sdwa v49, v78, v49 dst_sel:DWORD dst_unused:UNUSED_PAD src0_sel:DWORD src1_sel:BYTE_0
	v_mul_lo_u16 v123, v79, 30
	s_waitcnt vmcnt(6) lgkmcnt(14)
	v_mul_f32_e32 v134, v42, v1
	v_mul_f32_e32 v1, v41, v1
	s_waitcnt lgkmcnt(13)
	v_mul_f32_e32 v135, v83, v3
	v_mul_f32_e32 v3, v82, v3
	v_fmac_f32_e32 v134, v41, v0
	v_fma_f32 v41, v42, v0, -v1
	v_fmac_f32_e32 v135, v82, v2
	v_fma_f32 v42, v83, v2, -v3
	v_mul_f32_e32 v82, v44, v37
	v_mul_f32_e32 v37, v43, v37
	;; [unrolled: 1-line block ×3, first 2 shown]
	ds_read2_b64 v[0:3], v75 offset0:32 offset1:132
	s_waitcnt vmcnt(0) lgkmcnt(0)
	v_fmac_f32_e32 v82, v43, v36
	v_fma_f32 v36, v44, v36, -v37
	v_mul_f32_e32 v37, v84, v39
	v_mul_f32_e32 v39, v87, v33
	;; [unrolled: 1-line block ×4, first 2 shown]
	v_fmac_f32_e32 v83, v84, v38
	v_mul_f32_e32 v35, v60, v35
	v_mul_f32_e32 v44, v63, v31
	;; [unrolled: 1-line block ×5, first 2 shown]
	v_fma_f32 v37, v85, v38, -v37
	v_mul_f32_e32 v38, v89, v29
	v_mul_f32_e32 v29, v88, v29
	;; [unrolled: 1-line block ×3, first 2 shown]
	v_fmac_f32_e32 v39, v86, v32
	v_fma_f32 v32, v87, v32, -v33
	v_fmac_f32_e32 v43, v60, v34
	v_fma_f32 v33, v61, v34, -v35
	v_mul_f32_e32 v7, v90, v7
	v_mul_f32_e32 v34, v59, v9
	v_mul_f32_e32 v9, v58, v9
	v_fmac_f32_e32 v44, v62, v30
	v_fma_f32 v30, v63, v30, -v31
	v_mul_f32_e32 v62, v46, v17
	v_mul_f32_e32 v17, v17, v45
	v_mul_f32_e32 v63, v105, v19
	;; [unrolled: 5-line block ×3, first 2 shown]
	v_mul_f32_e32 v35, v93, v11
	v_fmac_f32_e32 v38, v88, v28
	v_fma_f32 v28, v89, v28, -v29
	v_mul_f32_e32 v11, v92, v11
	v_mul_f32_e32 v29, v95, v21
	;; [unrolled: 1-line block ×7, first 2 shown]
	v_fmac_f32_e32 v85, v90, v6
	v_fma_f32 v56, v91, v6, -v7
	v_mul_f32_e32 v6, v103, v13
	v_mul_f32_e32 v7, v102, v13
	;; [unrolled: 1-line block ×3, first 2 shown]
	v_fmac_f32_e32 v34, v58, v8
	v_fma_f32 v8, v59, v8, -v9
	v_mul_f32_e32 v9, v50, v15
	v_fmac_f32_e32 v62, v16, v45
	v_fma_f32 v13, v46, v16, -v17
	v_fmac_f32_e32 v63, v104, v18
	v_fma_f32 v5, v105, v18, -v5
	v_fmac_f32_e32 v31, v96, v24
	v_fmac_f32_e32 v61, v100, v26
	;; [unrolled: 1-line block ×3, first 2 shown]
	v_fma_f32 v19, v93, v10, -v11
	v_fmac_f32_e32 v29, v94, v20
	v_fma_f32 v10, v95, v20, -v21
	v_fmac_f32_e32 v60, v98, v22
	v_fma_f32 v58, v99, v22, -v23
	v_fma_f32 v11, v97, v24, -v25
	;; [unrolled: 1-line block ×3, first 2 shown]
	v_fmac_f32_e32 v6, v102, v12
	v_fma_f32 v7, v103, v12, -v7
	v_fmac_f32_e32 v57, v50, v14
	v_fma_f32 v45, v51, v14, -v9
	v_add_f32_e32 v20, v13, v5
	v_add_f32_e32 v18, v62, v63
	;; [unrolled: 1-line block ×10, first 2 shown]
	v_sub_f32_e32 v46, v13, v5
	v_add_f32_e32 v12, v106, v62
	v_sub_f32_e32 v50, v62, v63
	v_add_f32_e32 v13, v109, v41
	;; [unrolled: 2-line block ×5, first 2 shown]
	v_sub_f32_e32 v62, v82, v83
	v_sub_f32_e32 v82, v32, v33
	v_add_f32_e32 v25, v32, v33
	v_add_f32_e32 v32, v39, v43
	;; [unrolled: 1-line block ×3, first 2 shown]
	v_sub_f32_e32 v87, v28, v30
	v_add_f32_e32 v28, v28, v30
	v_add_f32_e32 v88, v38, v44
	;; [unrolled: 1-line block ×5, first 2 shown]
	v_sub_f32_e32 v96, v8, v19
	v_add_f32_e32 v98, v8, v19
	v_add_f32_e32 v100, v29, v60
	;; [unrolled: 1-line block ×4, first 2 shown]
	v_sub_f32_e32 v136, v11, v26
	v_add_f32_e32 v137, v11, v26
	v_add_f32_e32 v142, v7, v45
	;; [unrolled: 1-line block ×5, first 2 shown]
	v_fma_f32 v18, -0.5, v18, v106
	v_fma_f32 v19, -0.5, v20, v107
	v_add_f32_e32 v94, v118, v34
	v_sub_f32_e32 v99, v34, v35
	v_add_f32_e32 v34, v120, v29
	v_fma_f32 v108, -0.5, v22, v108
	v_fmac_f32_e32 v109, -0.5, v21
	v_add_f32_e32 v27, v112, v39
	v_sub_f32_e32 v86, v39, v43
	v_add_f32_e32 v39, v114, v38
	v_sub_f32_e32 v89, v38, v44
	;; [unrolled: 2-line block ×3, first 2 shown]
	v_add_f32_e32 v29, v0, v31
	v_fma_f32 v20, -0.5, v24, v110
	v_fma_f32 v21, -0.5, v23, v111
	v_fma_f32 v0, -0.5, v105, v0
	v_sub_f32_e32 v90, v4, v56
	v_add_f32_e32 v92, v116, v84
	v_sub_f32_e32 v84, v84, v85
	v_sub_f32_e32 v101, v10, v58
	v_add_f32_e32 v102, v121, v10
	v_add_f32_e32 v138, v3, v7
	;; [unrolled: 1-line block ×3, first 2 shown]
	v_sub_f32_e32 v140, v31, v61
	v_sub_f32_e32 v141, v7, v45
	;; [unrolled: 1-line block ×3, first 2 shown]
	v_add_f32_e32 v5, v9, v5
	v_add_f32_e32 v4, v12, v63
	;; [unrolled: 1-line block ×4, first 2 shown]
	v_fma_f32 v112, -0.5, v32, v112
	v_fmac_f32_e32 v113, -0.5, v25
	v_fma_f32 v22, -0.5, v88, v114
	v_fma_f32 v23, -0.5, v28, v115
	v_fma_f32 v116, -0.5, v93, v116
	v_fmac_f32_e32 v117, -0.5, v91
	v_fma_f32 v30, -0.5, v95, v118
	v_fma_f32 v31, -0.5, v98, v119
	;; [unrolled: 4-line block ×3, first 2 shown]
	v_fmac_f32_e32 v3, -0.5, v142
	v_fmamk_f32 v32, v46, 0xbf5db3d7, v18
	v_fmamk_f32 v33, v50, 0x3f5db3d7, v19
	v_fmac_f32_e32 v18, 0x3f5db3d7, v46
	v_fmac_f32_e32 v19, 0xbf5db3d7, v50
	v_add_f32_e32 v6, v14, v135
	v_add_f32_e32 v8, v16, v83
	;; [unrolled: 1-line block ×4, first 2 shown]
	v_fmamk_f32 v34, v51, 0xbf5db3d7, v108
	v_fmamk_f32 v35, v41, 0x3f5db3d7, v109
	v_fmac_f32_e32 v108, 0x3f5db3d7, v51
	v_fmac_f32_e32 v109, 0xbf5db3d7, v41
	v_add_f32_e32 v9, v15, v37
	v_add_f32_e32 v15, v38, v56
	v_fmamk_f32 v36, v59, 0xbf5db3d7, v20
	v_fmamk_f32 v37, v62, 0x3f5db3d7, v21
	;; [unrolled: 1-line block ×3, first 2 shown]
	v_fmac_f32_e32 v0, 0x3f5db3d7, v136
	s_barrier
	buffer_gl0_inv
	v_add_f32_e32 v10, v27, v43
	v_add_f32_e32 v12, v39, v44
	;; [unrolled: 1-line block ×8, first 2 shown]
	v_fmac_f32_e32 v20, 0x3f5db3d7, v59
	v_fmac_f32_e32 v21, 0xbf5db3d7, v62
	v_fmamk_f32 v38, v82, 0xbf5db3d7, v112
	v_fmamk_f32 v39, v86, 0x3f5db3d7, v113
	v_fmac_f32_e32 v112, 0x3f5db3d7, v82
	v_fmac_f32_e32 v113, 0xbf5db3d7, v86
	v_fmamk_f32 v41, v87, 0xbf5db3d7, v22
	v_fmamk_f32 v42, v89, 0x3f5db3d7, v23
	;; [unrolled: 4-line block ×3, first 2 shown]
	v_fmac_f32_e32 v116, 0x3f5db3d7, v90
	v_fmac_f32_e32 v117, 0xbf5db3d7, v84
	v_fmamk_f32 v45, v96, 0xbf5db3d7, v30
	v_fmac_f32_e32 v30, 0x3f5db3d7, v96
	v_fmamk_f32 v46, v99, 0x3f5db3d7, v31
	;; [unrolled: 2-line block ×7, first 2 shown]
	v_fmac_f32_e32 v3, 0xbf5db3d7, v144
	ds_write2_b64 v124, v[4:5], v[32:33] offset1:10
	ds_write_b64 v124, v[18:19] offset:160
	ds_write2_b64 v133, v[6:7], v[34:35] offset1:10
	ds_write_b64 v133, v[108:109] offset:160
	;; [unrolled: 2-line block ×10, first 2 shown]
	v_mul_u32_u24_sdwa v0, v81, v122 dst_sel:DWORD dst_unused:UNUSED_PAD src0_sel:BYTE_0 src1_sel:DWORD
	s_waitcnt lgkmcnt(0)
	s_barrier
	buffer_gl0_inv
	global_load_dwordx4 v[12:15], v132, s[8:9] offset:176
	v_lshlrev_b32_e32 v36, 3, v0
	v_sub_nc_u16 v82, v40, v123
	v_mov_b32_e32 v83, 0x960
	global_load_dwordx4 v[8:11], v36, s[8:9] offset:176
	v_mul_u32_u24_sdwa v0, v82, v122 dst_sel:DWORD dst_unused:UNUSED_PAD src0_sel:WORD_0 src1_sel:DWORD
	v_mul_u32_u24_sdwa v48, v48, v83 dst_sel:DWORD dst_unused:UNUSED_PAD src0_sel:WORD_0 src1_sel:DWORD
	v_lshlrev_b32_e32 v37, 3, v0
	s_clause 0xc
	global_load_dwordx4 v[4:7], v37, s[8:9] offset:176
	global_load_dwordx4 v[0:3], v132, s[8:9] offset:192
	;; [unrolled: 1-line block ×7, first 2 shown]
	global_load_dwordx2 v[58:59], v132, s[8:9] offset:224
	global_load_dwordx2 v[56:57], v36, s[8:9] offset:224
	;; [unrolled: 1-line block ×3, first 2 shown]
	global_load_dwordx4 v[44:47], v37, s[8:9] offset:160
	global_load_dwordx4 v[40:43], v36, s[8:9] offset:160
	;; [unrolled: 1-line block ×3, first 2 shown]
	v_add3_u32 v84, 0, v48, v49
	ds_read2_b64 v[48:51], v68 offset0:48 offset1:148
	ds_read2_b32 v[62:63], v65 offset0:8 offset1:9
	ds_read2_b64 v[85:88], v65 offset0:104 offset1:204
	ds_read2_b64 v[89:92], v73 offset0:120 offset1:220
	ds_read2_b64 v[93:96], v66 offset0:8 offset1:108
	ds_read2_b64 v[97:100], v70 offset0:64 offset1:164
	ds_read2_b64 v[101:104], v72 offset0:80 offset1:180
	ds_read2_b64 v[105:108], v53 offset0:96 offset1:196
	ds_read2_b64 v[109:112], v69 offset0:152 offset1:252
	ds_read2_b64 v[113:116], v71 offset0:40 offset1:140
	ds_read2_b64 v[117:120], v77 offset0:112 offset1:212
	ds_read_b64 v[133:134], v64 offset:6400
	ds_read2_b64 v[121:124], v74 offset0:144 offset1:244
	ds_read2_b64 v[125:128], v67 offset0:88 offset1:188
	;; [unrolled: 1-line block ×3, first 2 shown]
	v_add_nc_u32_e32 v135, 0x400, v84
	s_waitcnt vmcnt(14) lgkmcnt(14)
	v_mul_f32_e32 v137, v49, v15
	v_mul_f32_e32 v15, v48, v15
	s_waitcnt lgkmcnt(13)
	v_mul_f32_e32 v136, v63, v13
	v_mul_f32_e32 v13, v13, v62
	v_fmac_f32_e32 v137, v48, v14
	v_fma_f32 v48, v49, v14, -v15
	s_waitcnt vmcnt(13)
	v_mul_f32_e32 v49, v51, v11
	v_mul_f32_e32 v11, v50, v11
	v_fmac_f32_e32 v136, v12, v62
	v_fma_f32 v62, v63, v12, -v13
	s_waitcnt lgkmcnt(12)
	v_mul_f32_e32 v63, v86, v9
	v_fmac_f32_e32 v49, v50, v10
	v_fma_f32 v50, v51, v10, -v11
	v_mul_f32_e32 v10, v85, v9
	s_waitcnt vmcnt(12)
	v_mul_f32_e32 v11, v87, v5
	ds_read2_b64 v[12:15], v64 offset1:100
	v_mul_f32_e32 v9, v88, v5
	s_waitcnt lgkmcnt(12)
	v_mul_f32_e32 v5, v90, v7
	v_fmac_f32_e32 v63, v85, v8
	v_fma_f32 v51, v86, v8, -v10
	v_mul_f32_e32 v7, v89, v7
	s_waitcnt vmcnt(11)
	v_mul_f32_e32 v8, v92, v1
	v_mul_f32_e32 v10, v91, v1
	s_waitcnt lgkmcnt(11)
	v_mul_f32_e32 v85, v94, v3
	v_fma_f32 v1, v88, v4, -v11
	v_mul_f32_e32 v11, v93, v3
	v_fmac_f32_e32 v9, v87, v4
	s_waitcnt vmcnt(10)
	v_mul_f32_e32 v86, v96, v27
	v_mul_f32_e32 v27, v95, v27
	s_waitcnt lgkmcnt(10)
	v_mul_f32_e32 v87, v98, v25
	v_fmac_f32_e32 v5, v89, v6
	v_fma_f32 v4, v90, v6, -v7
	v_mul_f32_e32 v7, v97, v25
	s_waitcnt vmcnt(9)
	v_mul_f32_e32 v3, v100, v21
	v_mul_f32_e32 v21, v99, v21
	s_waitcnt lgkmcnt(9)
	v_mul_f32_e32 v6, v102, v23
	v_fmac_f32_e32 v8, v91, v0
	v_fma_f32 v0, v92, v0, -v10
	v_mul_f32_e32 v10, v101, v23
	s_waitcnt vmcnt(8) lgkmcnt(8)
	v_mul_f32_e32 v25, v106, v19
	v_fmac_f32_e32 v85, v93, v2
	v_fma_f32 v2, v94, v2, -v11
	v_mul_f32_e32 v11, v105, v19
	v_mul_f32_e32 v23, v104, v17
	;; [unrolled: 1-line block ×3, first 2 shown]
	s_waitcnt vmcnt(7) lgkmcnt(7)
	v_mul_f32_e32 v88, v110, v29
	v_fmac_f32_e32 v86, v95, v26
	v_fma_f32 v89, v96, v26, -v27
	v_mul_f32_e32 v26, v109, v29
	s_waitcnt vmcnt(6) lgkmcnt(6)
	v_mul_f32_e32 v91, v114, v35
	v_fmac_f32_e32 v87, v97, v24
	v_fma_f32 v92, v98, v24, -v7
	v_mul_f32_e32 v7, v113, v35
	s_waitcnt vmcnt(5)
	v_mul_f32_e32 v24, v116, v59
	v_mul_f32_e32 v29, v115, v59
	s_waitcnt vmcnt(4) lgkmcnt(5)
	v_mul_f32_e32 v35, v118, v57
	v_fmac_f32_e32 v3, v99, v20
	v_fma_f32 v59, v100, v20, -v21
	v_mul_f32_e32 v20, v117, v57
	s_waitcnt vmcnt(3)
	v_mul_f32_e32 v57, v120, v61
	v_mul_f32_e32 v21, v119, v61
	s_waitcnt vmcnt(2) lgkmcnt(4)
	v_mul_f32_e32 v61, v134, v47
	v_fmac_f32_e32 v6, v101, v22
	v_fma_f32 v93, v102, v22, -v10
	v_mul_f32_e32 v10, v133, v47
	s_waitcnt lgkmcnt(3)
	v_mul_f32_e32 v47, v124, v45
	v_mul_f32_e32 v22, v123, v45
	s_waitcnt vmcnt(0) lgkmcnt(2)
	v_mul_f32_e32 v45, v39, v126
	v_fmac_f32_e32 v25, v105, v18
	v_fma_f32 v11, v106, v18, -v11
	v_mul_f32_e32 v18, v39, v125
	s_waitcnt lgkmcnt(1)
	v_mul_f32_e32 v39, v37, v132
	v_mul_f32_e32 v37, v37, v131
	;; [unrolled: 1-line block ×5, first 2 shown]
	v_fmac_f32_e32 v23, v103, v16
	v_fma_f32 v16, v104, v16, -v17
	v_mul_f32_e32 v17, v121, v41
	v_mul_f32_e32 v41, v128, v43
	;; [unrolled: 1-line block ×3, first 2 shown]
	v_fmac_f32_e32 v45, v38, v125
	v_fmac_f32_e32 v39, v36, v131
	v_fma_f32 v97, v114, v34, -v7
	v_fma_f32 v7, v116, v58, -v29
	v_fmac_f32_e32 v61, v133, v46
	v_fma_f32 v46, v134, v46, -v10
	v_fma_f32 v10, v38, v126, -v18
	;; [unrolled: 1-line block ×3, first 2 shown]
	v_mul_f32_e32 v19, v108, v31
	v_mul_f32_e32 v31, v107, v31
	v_fmac_f32_e32 v88, v109, v28
	v_fma_f32 v95, v110, v28, -v26
	v_fmac_f32_e32 v90, v111, v32
	v_fma_f32 v96, v112, v32, -v27
	v_fmac_f32_e32 v24, v115, v58
	v_fmac_f32_e32 v35, v117, v56
	v_fma_f32 v56, v118, v56, -v20
	v_fmac_f32_e32 v33, v121, v40
	v_fma_f32 v17, v122, v40, -v17
	;; [unrolled: 2-line block ×3, first 2 shown]
	v_add_f32_e32 v32, v0, v16
	s_waitcnt lgkmcnt(0)
	v_add_f32_e32 v42, v12, v45
	v_add_f32_e32 v98, v39, v136
	v_sub_f32_e32 v29, v62, v0
	v_sub_f32_e32 v37, v62, v7
	v_add_f32_e32 v99, v18, v62
	v_sub_f32_e32 v112, v0, v62
	v_add_f32_e32 v62, v62, v7
	v_fmac_f32_e32 v19, v107, v30
	v_fma_f32 v94, v108, v30, -v31
	v_fmac_f32_e32 v91, v113, v34
	v_fmac_f32_e32 v57, v119, v60
	v_fma_f32 v58, v120, v60, -v21
	v_fmac_f32_e32 v47, v123, v44
	v_fma_f32 v44, v124, v44, -v22
	v_sub_f32_e32 v22, v10, v48
	v_sub_f32_e32 v27, v136, v8
	;; [unrolled: 1-line block ×3, first 2 shown]
	v_add_f32_e32 v31, v8, v23
	v_sub_f32_e32 v34, v136, v24
	v_sub_f32_e32 v36, v8, v23
	v_add_f32_e32 v43, v137, v85
	v_add_f32_e32 v60, v13, v10
	v_sub_f32_e32 v101, v10, v11
	v_sub_f32_e32 v107, v48, v10
	v_add_f32_e32 v10, v10, v11
	v_sub_f32_e32 v109, v8, v136
	v_add_f32_e32 v110, v136, v24
	v_add_f32_e32 v119, v87, v88
	;; [unrolled: 1-line block ×3, first 2 shown]
	v_sub_f32_e32 v122, v87, v63
	v_sub_f32_e32 v123, v88, v35
	v_add_f32_e32 v124, v92, v95
	v_add_f32_e32 v125, v51, v56
	;; [unrolled: 1-line block ×4, first 2 shown]
	v_fma_f32 v32, -0.5, v32, v18
	v_sub_f32_e32 v38, v0, v16
	v_add_f32_e32 v0, v99, v0
	v_fmac_f32_e32 v18, -0.5, v62
	v_sub_f32_e32 v20, v45, v137
	v_sub_f32_e32 v26, v11, v2
	;; [unrolled: 1-line block ×3, first 2 shown]
	v_add_f32_e32 v100, v48, v2
	v_sub_f32_e32 v102, v48, v2
	v_sub_f32_e32 v103, v45, v25
	;; [unrolled: 1-line block ×4, first 2 shown]
	v_add_f32_e32 v45, v45, v25
	v_sub_f32_e32 v111, v23, v24
	v_add_f32_e32 v121, v33, v63
	v_add_f32_e32 v126, v17, v51
	v_sub_f32_e32 v133, v87, v88
	v_add_f32_e32 v29, v29, v30
	v_add_f32_e32 v30, v4, v93
	;; [unrolled: 1-line block ×3, first 2 shown]
	v_fma_f32 v31, -0.5, v31, v39
	v_fmac_f32_e32 v39, -0.5, v110
	v_fma_f32 v124, -0.5, v124, v17
	v_fmac_f32_e32 v17, -0.5, v125
	;; [unrolled: 2-line block ×3, first 2 shown]
	v_sub_f32_e32 v120, v59, v1
	v_add_f32_e32 v122, v122, v123
	v_sub_f32_e32 v123, v96, v58
	v_add_f32_e32 v42, v42, v85
	v_add_f32_e32 v8, v8, v23
	v_fma_f32 v43, -0.5, v43, v12
	v_fma_f32 v140, -0.5, v10, v13
	v_fmamk_f32 v23, v34, 0x3f737871, v32
	v_fmac_f32_e32 v32, 0xbf737871, v34
	v_sub_f32_e32 v113, v16, v7
	v_add_f32_e32 v0, v0, v16
	v_fmamk_f32 v16, v36, 0xbf737871, v18
	v_fmac_f32_e32 v18, 0x3f737871, v36
	v_sub_f32_e32 v21, v25, v85
	v_sub_f32_e32 v106, v85, v25
	;; [unrolled: 1-line block ×3, first 2 shown]
	v_add_f32_e32 v114, v50, v89
	v_add_f32_e32 v115, v40, v94
	v_sub_f32_e32 v127, v92, v51
	v_sub_f32_e32 v128, v95, v56
	;; [unrolled: 1-line block ×4, first 2 shown]
	v_add_f32_e32 v22, v22, v26
	v_add_f32_e32 v26, v41, v19
	;; [unrolled: 1-line block ×5, first 2 shown]
	v_fma_f32 v139, -0.5, v30, v130
	v_sub_f32_e32 v30, v49, v41
	v_add_f32_e32 v120, v120, v123
	v_sub_f32_e32 v123, v86, v19
	v_add_f32_e32 v2, v48, v2
	v_fma_f32 v100, -0.5, v100, v13
	v_fma_f32 v45, -0.5, v45, v12
	v_fmamk_f32 v12, v37, 0xbf737871, v31
	v_add_f32_e32 v10, v42, v25
	v_fmamk_f32 v25, v101, 0xbf737871, v43
	v_fmamk_f32 v142, v104, 0xbf737871, v140
	v_fmac_f32_e32 v140, 0x3f737871, v104
	v_fmac_f32_e32 v43, 0x3f737871, v101
	v_fmamk_f32 v13, v38, 0x3f737871, v39
	v_fmac_f32_e32 v39, 0xbf737871, v38
	v_fmac_f32_e32 v23, 0x3f167918, v36
	;; [unrolled: 1-line block ×3, first 2 shown]
	v_fmamk_f32 v36, v133, 0xbf737871, v17
	v_fmac_f32_e32 v17, 0x3f737871, v133
	v_add_f32_e32 v112, v112, v113
	v_fmac_f32_e32 v16, 0x3f167918, v34
	v_fmac_f32_e32 v18, 0xbf167918, v34
	;; [unrolled: 1-line block ×3, first 2 shown]
	v_add_f32_e32 v116, v15, v40
	v_sub_f32_e32 v131, v49, v86
	v_sub_f32_e32 v138, v51, v56
	v_add_f32_e32 v60, v130, v46
	v_add_f32_e32 v109, v109, v111
	v_fma_f32 v114, -0.5, v114, v15
	v_fmac_f32_e32 v15, -0.5, v115
	v_add_f32_e32 v127, v127, v128
	v_fmac_f32_e32 v130, -0.5, v137
	v_add_f32_e32 v123, v30, v123
	v_add_f32_e32 v30, v5, v6
	v_add_f32_e32 v85, v61, v91
	v_sub_f32_e32 v137, v50, v89
	v_add_f32_e32 v2, v2, v11
	v_fmamk_f32 v42, v103, 0x3f737871, v100
	v_add_f32_e32 v11, v8, v24
	v_fmamk_f32 v141, v102, 0x3f737871, v45
	v_fmac_f32_e32 v45, 0xbf737871, v102
	v_add_f32_e32 v0, v0, v7
	v_fmac_f32_e32 v100, 0xbf737871, v103
	v_fmac_f32_e32 v142, 0x3f167918, v103
	v_fmac_f32_e32 v140, 0xbf167918, v103
	v_fmac_f32_e32 v13, 0xbf167918, v37
	v_fmac_f32_e32 v39, 0x3f167918, v37
	v_fma_f32 v103, -0.5, v26, v14
	v_add_f32_e32 v7, v28, v49
	v_fmac_f32_e32 v25, 0xbf167918, v102
	v_fmac_f32_e32 v43, 0x3f167918, v102
	v_fmamk_f32 v102, v132, 0x3f737871, v33
	v_fmac_f32_e32 v33, 0xbf737871, v132
	v_fmac_f32_e32 v12, 0xbf167918, v38
	;; [unrolled: 1-line block ×8, first 2 shown]
	v_sub_f32_e32 v117, v50, v40
	v_sub_f32_e32 v118, v89, v94
	;; [unrolled: 1-line block ×3, first 2 shown]
	v_add_f32_e32 v20, v20, v21
	v_add_f32_e32 v48, v129, v61
	v_sub_f32_e32 v37, v40, v94
	v_fma_f32 v143, -0.5, v30, v129
	v_fma_f32 v85, -0.5, v85, v129
	v_fmac_f32_e32 v42, 0x3f167918, v104
	v_fmac_f32_e32 v100, 0xbf167918, v104
	v_fmamk_f32 v104, v131, 0xbf737871, v15
	v_fmac_f32_e32 v15, 0x3f737871, v131
	v_fmac_f32_e32 v13, 0x3e9e377a, v109
	;; [unrolled: 1-line block ×3, first 2 shown]
	v_fmamk_f32 v109, v137, 0x3f737871, v103
	v_fmac_f32_e32 v103, 0xbf737871, v137
	v_add_f32_e32 v129, v7, v86
	v_fmac_f32_e32 v33, 0x3f167918, v138
	v_fmac_f32_e32 v12, 0x3e9e377a, v27
	v_add_f32_e32 v7, v10, v11
	v_add_f32_e32 v8, v2, v0
	v_sub_f32_e32 v10, v10, v11
	v_sub_f32_e32 v11, v2, v0
	v_fmac_f32_e32 v17, 0x3e9e377a, v127
	v_mul_f32_e32 v0, 0xbf167918, v23
	v_mul_f32_e32 v2, 0x3f4f1bbd, v23
	v_add_f32_e32 v105, v105, v106
	v_add_f32_e32 v107, v107, v108
	v_fmac_f32_e32 v141, 0xbf167918, v101
	v_fmac_f32_e32 v45, 0x3f167918, v101
	v_mul_f32_e32 v29, 0xbf737871, v16
	v_mul_f32_e32 v30, 0x3e9e377a, v16
	;; [unrolled: 1-line block ×4, first 2 shown]
	v_fmac_f32_e32 v31, 0x3e9e377a, v27
	v_mul_f32_e32 v144, 0xbf167918, v32
	v_mul_f32_e32 v145, 0xbf4f1bbd, v32
	v_add_f32_e32 v117, v117, v118
	v_fmac_f32_e32 v15, 0xbf167918, v134
	v_fmac_f32_e32 v103, 0x3f167918, v37
	;; [unrolled: 1-line block ×5, first 2 shown]
	v_mul_f32_e32 v16, 0xbe9e377a, v17
	v_fmac_f32_e32 v0, 0x3f4f1bbd, v12
	v_fmac_f32_e32 v2, 0x3f167918, v12
	v_mul_f32_e32 v17, 0xbf737871, v17
	v_add_f32_e32 v21, v49, v86
	v_fmac_f32_e32 v141, 0x3e9e377a, v105
	v_fmac_f32_e32 v45, 0x3e9e377a, v105
	;; [unrolled: 1-line block ×16, first 2 shown]
	v_add_f32_e32 v12, v25, v0
	v_add_f32_e32 v13, v42, v2
	v_fma_f32 v101, -0.5, v21, v14
	v_add_f32_e32 v21, v141, v29
	v_add_f32_e32 v22, v142, v30
	;; [unrolled: 1-line block ×6, first 2 shown]
	v_sub_f32_e32 v25, v25, v0
	v_sub_f32_e32 v26, v42, v2
	;; [unrolled: 1-line block ×4, first 2 shown]
	s_barrier
	buffer_gl0_inv
	v_add_f32_e32 v116, v116, v50
	v_add_f32_e32 v121, v121, v87
	;; [unrolled: 1-line block ×4, first 2 shown]
	v_sub_f32_e32 v16, v15, v16
	ds_write2_b64 v84, v[7:8], v[12:13] offset1:30
	ds_write2_b64 v84, v[21:22], v[23:24] offset0:60 offset1:90
	ds_write2_b64 v84, v[27:28], v[10:11] offset0:120 offset1:150
	;; [unrolled: 1-line block ×3, first 2 shown]
	v_add_f32_e32 v13, v103, v17
	v_sub_f32_e32 v15, v103, v17
	v_sub_f32_e32 v12, v51, v92
	;; [unrolled: 1-line block ×3, first 2 shown]
	v_fmamk_f32 v21, v136, 0x3f737871, v124
	v_add_f32_e32 v0, v116, v89
	v_add_f32_e32 v2, v121, v88
	;; [unrolled: 1-line block ×4, first 2 shown]
	v_sub_f32_e32 v8, v19, v86
	v_sub_f32_e32 v19, v40, v50
	;; [unrolled: 1-line block ×4, first 2 shown]
	v_add_f32_e32 v12, v12, v17
	v_fmamk_f32 v17, v138, 0xbf737871, v119
	v_fmac_f32_e32 v21, 0x3f167918, v133
	v_sub_f32_e32 v24, v94, v89
	v_fmac_f32_e32 v36, 0x3f167918, v136
	v_add_f32_e32 v0, v0, v94
	v_add_f32_e32 v2, v2, v35
	;; [unrolled: 1-line block ×3, first 2 shown]
	v_sub_f32_e32 v7, v41, v49
	v_add_f32_e32 v25, v22, v23
	v_fmac_f32_e32 v17, 0xbf167918, v132
	v_fmac_f32_e32 v21, 0x3e9e377a, v12
	v_add_f32_e32 v19, v19, v24
	v_fmamk_f32 v23, v37, 0xbf737871, v101
	v_fmamk_f32 v24, v134, 0x3f737871, v114
	v_fmac_f32_e32 v102, 0xbf167918, v138
	v_fmac_f32_e32 v36, 0x3e9e377a, v127
	;; [unrolled: 1-line block ×3, first 2 shown]
	v_sub_f32_e32 v111, v3, v9
	v_sub_f32_e32 v62, v90, v57
	v_add_f32_e32 v113, v59, v96
	v_add_f32_e32 v115, v1, v58
	;; [unrolled: 1-line block ×3, first 2 shown]
	v_fmac_f32_e32 v17, 0x3e9e377a, v25
	v_mul_f32_e32 v27, 0xbf167918, v21
	v_mul_f32_e32 v28, 0x3f4f1bbd, v21
	v_fmac_f32_e32 v23, 0xbf167918, v137
	v_fmac_f32_e32 v24, 0x3f167918, v131
	v_add_f32_e32 v7, v10, v2
	v_add_f32_e32 v8, v0, v11
	v_sub_f32_e32 v10, v10, v2
	v_sub_f32_e32 v11, v0, v11
	v_fmac_f32_e32 v109, 0xbf167918, v37
	v_fmac_f32_e32 v104, 0x3f167918, v134
	;; [unrolled: 1-line block ×3, first 2 shown]
	v_mul_f32_e32 v0, 0xbf737871, v36
	v_mul_f32_e32 v2, 0x3e9e377a, v36
	v_fmac_f32_e32 v119, 0x3f737871, v138
	v_fmac_f32_e32 v124, 0xbf167918, v133
	;; [unrolled: 1-line block ×3, first 2 shown]
	v_sub_f32_e32 v98, v4, v46
	v_sub_f32_e32 v99, v93, v97
	v_add_f32_e32 v106, v3, v90
	v_add_f32_e32 v125, v44, v1
	v_fma_f32 v113, -0.5, v113, v44
	v_fmac_f32_e32 v44, -0.5, v115
	v_sub_f32_e32 v115, v3, v90
	v_add_f32_e32 v62, v111, v62
	v_sub_f32_e32 v111, v9, v57
	v_fmac_f32_e32 v27, 0x3f4f1bbd, v17
	v_fmac_f32_e32 v28, 0x3f167918, v17
	v_fmac_f32_e32 v23, 0x3e9e377a, v26
	v_fmac_f32_e32 v24, 0x3e9e377a, v19
	v_fmac_f32_e32 v109, 0x3e9e377a, v123
	v_fmac_f32_e32 v104, 0x3e9e377a, v117
	v_fmac_f32_e32 v0, 0x3e9e377a, v102
	v_fmac_f32_e32 v114, 0xbf737871, v134
	v_fmac_f32_e32 v119, 0x3f167918, v132
	v_fmac_f32_e32 v124, 0x3e9e377a, v12
	v_fmac_f32_e32 v2, 0x3f737871, v102
	v_fmac_f32_e32 v101, 0x3f167918, v137
	v_add_f32_e32 v108, v9, v57
	v_add_f32_e32 v110, v47, v9
	v_fma_f32 v106, -0.5, v106, v47
	v_add_f32_e32 v98, v98, v99
	v_sub_f32_e32 v99, v1, v58
	v_fmamk_f32 v38, v115, 0xbf737871, v44
	v_fmac_f32_e32 v44, 0x3f737871, v115
	v_add_f32_e32 v21, v23, v27
	v_add_f32_e32 v22, v24, v28
	v_sub_f32_e32 v23, v23, v27
	v_sub_f32_e32 v24, v24, v28
	v_fmac_f32_e32 v114, 0xbf167918, v131
	v_fmac_f32_e32 v119, 0x3e9e377a, v25
	v_mul_f32_e32 v12, 0xbf167918, v124
	v_mul_f32_e32 v17, 0xbf4f1bbd, v124
	v_add_f32_e32 v25, v109, v0
	v_fmac_f32_e32 v101, 0x3e9e377a, v26
	v_add_f32_e32 v26, v104, v2
	v_sub_f32_e32 v27, v109, v0
	v_sub_f32_e32 v28, v104, v2
	;; [unrolled: 1-line block ×6, first 2 shown]
	v_fmamk_f32 v41, v111, 0x3f737871, v113
	v_sub_f32_e32 v118, v59, v96
	v_fmac_f32_e32 v47, -0.5, v108
	v_sub_f32_e32 v108, v61, v91
	v_fmac_f32_e32 v44, 0xbf167918, v111
	v_sub_f32_e32 v31, v45, v34
	v_sub_f32_e32 v32, v140, v112
	v_sub_f32_e32 v33, v43, v144
	v_sub_f32_e32 v34, v100, v145
	v_fmac_f32_e32 v114, 0x3e9e377a, v19
	v_fmac_f32_e32 v12, 0xbf4f1bbd, v119
	;; [unrolled: 1-line block ×3, first 2 shown]
	v_add_f32_e32 v36, v0, v2
	v_add_f32_e32 v2, v110, v3
	v_sub_f32_e32 v3, v9, v3
	v_sub_f32_e32 v9, v57, v90
	v_add_f32_e32 v40, v1, v40
	v_fmamk_f32 v42, v99, 0xbf737871, v106
	v_fmac_f32_e32 v41, 0x3f167918, v115
	v_add_f32_e32 v0, v48, v5
	v_fmac_f32_e32 v113, 0xbf737871, v111
	v_sub_f32_e32 v128, v5, v6
	v_fmac_f32_e32 v44, 0x3e9e377a, v120
	ds_write2_b64 v135, v[31:32], v[33:34] offset0:112 offset1:142
	v_add_f32_e32 v29, v101, v12
	v_add_f32_e32 v30, v114, v17
	v_sub_f32_e32 v31, v101, v12
	v_sub_f32_e32 v12, v4, v93
	;; [unrolled: 1-line block ×4, first 2 shown]
	v_add_f32_e32 v17, v60, v4
	v_add_f32_e32 v33, v125, v59
	v_sub_f32_e32 v4, v46, v4
	v_sub_f32_e32 v1, v97, v93
	v_add_f32_e32 v9, v3, v9
	v_fmac_f32_e32 v42, 0xbf167918, v118
	v_fmac_f32_e32 v41, 0x3e9e377a, v40
	v_fmamk_f32 v45, v108, 0x3f737871, v139
	v_fmamk_f32 v105, v118, 0x3f737871, v47
	v_add_f32_e32 v0, v0, v6
	v_add_f32_e32 v2, v2, v90
	v_fmac_f32_e32 v38, 0x3f167918, v111
	v_fmac_f32_e32 v106, 0x3f737871, v99
	;; [unrolled: 1-line block ×3, first 2 shown]
	v_mul_f32_e32 v20, 0xbe9e377a, v44
	v_mul_f32_e32 v19, 0xbf737871, v44
	v_add_f32_e32 v34, v17, v93
	v_add_f32_e32 v33, v33, v96
	v_sub_f32_e32 v5, v61, v5
	v_sub_f32_e32 v6, v91, v6
	v_add_f32_e32 v43, v4, v1
	v_fmamk_f32 v44, v35, 0xbf737871, v143
	v_fmac_f32_e32 v42, 0x3e9e377a, v9
	v_mul_f32_e32 v46, 0xbf167918, v41
	v_mul_f32_e32 v41, 0x3f4f1bbd, v41
	v_fmac_f32_e32 v45, 0x3f167918, v128
	v_fmac_f32_e32 v143, 0x3f737871, v35
	v_fmamk_f32 v37, v12, 0x3f737871, v85
	v_add_f32_e32 v39, v0, v91
	v_add_f32_e32 v2, v2, v57
	v_fmac_f32_e32 v105, 0xbf167918, v99
	v_fmac_f32_e32 v38, 0x3e9e377a, v120
	;; [unrolled: 1-line block ×4, first 2 shown]
	v_add_f32_e32 v34, v34, v97
	v_add_f32_e32 v33, v33, v58
	;; [unrolled: 1-line block ×3, first 2 shown]
	v_fmac_f32_e32 v44, 0xbf167918, v12
	v_fmac_f32_e32 v41, 0x3f167918, v42
	;; [unrolled: 1-line block ×4, first 2 shown]
	v_add_f32_e32 v0, v39, v2
	v_sub_f32_e32 v2, v39, v2
	v_fmac_f32_e32 v37, 0xbf167918, v35
	v_fmac_f32_e32 v105, 0x3e9e377a, v62
	v_mul_f32_e32 v39, 0xbf737871, v38
	v_fmac_f32_e32 v139, 0xbf737871, v108
	v_fmac_f32_e32 v106, 0x3e9e377a, v9
	v_mul_f32_e32 v9, 0xbf167918, v113
	v_add_f32_e32 v1, v34, v33
	v_fmac_f32_e32 v44, 0x3e9e377a, v6
	v_sub_f32_e32 v3, v34, v33
	v_add_f32_e32 v5, v45, v41
	v_sub_f32_e32 v34, v45, v41
	v_fmac_f32_e32 v143, 0x3e9e377a, v6
	v_mul_u32_u24_sdwa v6, v80, v83 dst_sel:DWORD dst_unused:UNUSED_PAD src0_sel:WORD_0 src1_sel:DWORD
	v_lshlrev_b32_sdwa v41, v78, v81 dst_sel:DWORD dst_unused:UNUSED_PAD src0_sel:DWORD src1_sel:BYTE_0
	v_fmac_f32_e32 v85, 0xbf737871, v12
	v_fmac_f32_e32 v37, 0x3e9e377a, v36
	v_fmac_f32_e32 v39, 0x3e9e377a, v105
	v_fmac_f32_e32 v139, 0xbf167918, v128
	v_fmac_f32_e32 v9, 0xbf4f1bbd, v106
	v_fmac_f32_e32 v47, 0xbf737871, v118
	v_add3_u32 v6, 0, v6, v41
	v_fmac_f32_e32 v85, 0x3f167918, v35
	v_fmac_f32_e32 v46, 0x3f4f1bbd, v42
	v_add_f32_e32 v35, v37, v39
	v_fmac_f32_e32 v139, 0x3e9e377a, v43
	v_sub_f32_e32 v37, v37, v39
	v_add_f32_e32 v39, v143, v9
	v_sub_f32_e32 v41, v143, v9
	v_lshlrev_b32_sdwa v9, v78, v82 dst_sel:DWORD dst_unused:UNUSED_PAD src0_sel:DWORD src1_sel:WORD_0
	v_mul_u32_u24_e32 v43, 0x960, v79
	v_fmamk_f32 v107, v128, 0xbf737871, v130
	v_fmac_f32_e32 v130, 0x3f737871, v128
	v_fmac_f32_e32 v47, 0x3f167918, v99
	ds_write2_b64 v6, v[7:8], v[21:22] offset1:30
	ds_write2_b64 v6, v[25:26], v[13:14] offset0:60 offset1:90
	v_add_nc_u32_e32 v7, 0x400, v6
	ds_write2_b64 v6, v[29:30], v[10:11] offset0:120 offset1:150
	ds_write2_b64 v6, v[23:24], v[27:28] offset0:180 offset1:210
	v_mul_u32_u24_e32 v6, 9, v52
	v_add_f32_e32 v4, v44, v46
	v_add3_u32 v8, 0, v43, v9
	v_fmac_f32_e32 v130, 0xbf167918, v108
	v_fmac_f32_e32 v47, 0x3e9e377a, v62
	;; [unrolled: 1-line block ×3, first 2 shown]
	v_mul_f32_e32 v38, 0x3e9e377a, v38
	v_mul_f32_e32 v12, 0xbf4f1bbd, v113
	ds_write2_b64 v7, v[15:16], v[31:32] offset0:112 offset1:142
	ds_write2_b64 v8, v[0:1], v[4:5] offset1:30
	v_lshlrev_b32_e32 v1, 3, v6
	v_fmac_f32_e32 v130, 0x3e9e377a, v98
	v_fmac_f32_e32 v20, 0x3f737871, v47
	;; [unrolled: 1-line block ×7, first 2 shown]
	v_add_co_u32 v4, s0, s8, v1
	v_add_co_ci_u32_e64 v5, null, s9, 0, s0
	v_add_f32_e32 v18, v130, v20
	v_add_f32_e32 v17, v85, v19
	;; [unrolled: 1-line block ×4, first 2 shown]
	v_sub_f32_e32 v33, v44, v46
	v_sub_f32_e32 v38, v107, v38
	v_sub_f32_e32 v20, v130, v20
	v_sub_f32_e32 v19, v85, v19
	v_sub_f32_e32 v42, v139, v12
	v_add_nc_u32_e32 v0, 0x400, v8
	v_add_co_u32 v12, s0, 0x800, v4
	v_add_co_ci_u32_e64 v13, s0, 0, v5, s0
	ds_write2_b64 v8, v[35:36], v[17:18] offset0:60 offset1:90
	ds_write2_b64 v8, v[39:40], v[2:3] offset0:120 offset1:150
	;; [unrolled: 1-line block ×4, first 2 shown]
	v_add_co_u32 v8, s0, 0x4150, v4
	v_add_co_ci_u32_e64 v9, s0, 0, v5, s0
	v_add_co_u32 v14, s0, 0x2000, v4
	v_add_co_ci_u32_e64 v15, s0, 0, v5, s0
	v_add_co_u32 v10, s0, 0x4000, v4
	v_add_co_ci_u32_e64 v11, s0, 0, v5, s0
	s_waitcnt lgkmcnt(0)
	s_barrier
	buffer_gl0_inv
	s_clause 0x3
	global_load_dwordx2 v[16:17], v[12:13], off offset:336
	global_load_dwordx4 v[0:3], v[8:9], off offset:48
	global_load_dwordx2 v[18:19], v[14:15], off offset:1392
	global_load_dwordx2 v[20:21], v[10:11], off offset:400
	v_add_co_u32 v30, s0, 0x2530, v4
	v_add_co_ci_u32_e64 v31, s0, 0, v5, s0
	v_add_co_u32 v32, s0, 0x910, v4
	v_add_co_ci_u32_e64 v33, s0, 0, v5, s0
	s_clause 0xa
	global_load_dwordx4 v[4:7], v[30:31], off offset:48
	global_load_dwordx4 v[22:25], v[32:33], off offset:48
	;; [unrolled: 1-line block ×11, first 2 shown]
	ds_read2_b64 v[41:44], v71 offset0:40 offset1:140
	ds_read2_b64 v[98:101], v77 offset0:112 offset1:212
	;; [unrolled: 1-line block ×12, first 2 shown]
	s_waitcnt vmcnt(14) lgkmcnt(11)
	v_mul_f32_e32 v35, v44, v17
	v_mul_f32_e32 v30, v43, v17
	s_waitcnt vmcnt(13)
	v_mul_f32_e32 v17, v42, v3
	v_mul_f32_e32 v3, v41, v3
	s_waitcnt vmcnt(12) lgkmcnt(10)
	v_mul_f32_e32 v13, v98, v19
	s_waitcnt vmcnt(11)
	v_mul_f32_e32 v12, v101, v21
	v_mul_f32_e32 v21, v100, v21
	;; [unrolled: 1-line block ×3, first 2 shown]
	s_waitcnt lgkmcnt(9)
	v_mul_f32_e32 v14, v105, v1
	v_mul_f32_e32 v1, v104, v1
	s_waitcnt vmcnt(9) lgkmcnt(8)
	v_mul_f32_e32 v38, v107, v25
	v_mul_f32_e32 v25, v106, v25
	s_waitcnt lgkmcnt(7)
	v_mul_f32_e32 v39, v113, v23
	v_mul_f32_e32 v50, v112, v23
	v_fma_f32 v36, v99, v18, -v13
	v_fma_f32 v13, v101, v20, -v21
	v_fmac_f32_e32 v17, v41, v2
	v_fma_f32 v21, v42, v2, -v3
	s_waitcnt vmcnt(5) lgkmcnt(4)
	v_mul_f32_e32 v2, v122, v81
	s_waitcnt lgkmcnt(3)
	v_mul_f32_e32 v3, v128, v79
	v_mul_f32_e32 v33, v103, v5
	;; [unrolled: 1-line block ×6, first 2 shown]
	v_fmac_f32_e32 v32, v98, v18
	v_mul_f32_e32 v18, v116, v27
	v_mul_f32_e32 v37, v115, v46
	v_fmac_f32_e32 v12, v100, v20
	v_mul_f32_e32 v27, v114, v46
	v_fmac_f32_e32 v35, v43, v16
	v_fma_f32 v49, v44, v16, -v30
	v_fmac_f32_e32 v14, v104, v0
	v_fma_f32 v16, v105, v0, -v1
	v_fma_f32 v46, v107, v24, -v25
	v_fmac_f32_e32 v39, v112, v22
	v_fma_f32 v56, v113, v22, -v50
	v_fma_f32 v25, v123, v80, -v2
	;; [unrolled: 1-line block ×3, first 2 shown]
	ds_read2_b64 v[98:101], v67 offset0:88 offset1:188
	ds_read2_b64 v[0:3], v76 offset0:72 offset1:172
	v_mul_f32_e32 v34, v121, v48
	v_mul_f32_e32 v51, v120, v48
	;; [unrolled: 1-line block ×6, first 2 shown]
	v_fmac_f32_e32 v33, v102, v4
	v_fma_f32 v42, v103, v4, -v5
	v_fmac_f32_e32 v31, v108, v6
	v_fma_f32 v43, v109, v6, -v7
	s_waitcnt vmcnt(4)
	v_mul_f32_e32 v4, v126, v83
	s_waitcnt lgkmcnt(4)
	v_mul_f32_e32 v5, v132, v85
	s_waitcnt vmcnt(3)
	v_mul_f32_e32 v6, v130, v89
	v_mul_f32_e32 v19, v111, v29
	;; [unrolled: 1-line block ×3, first 2 shown]
	v_fmac_f32_e32 v34, v120, v47
	v_fma_f32 v47, v121, v47, -v51
	v_fmac_f32_e32 v40, v118, v59
	v_fma_f32 v50, v119, v59, -v60
	;; [unrolled: 2-line block ×3, first 2 shown]
	v_fma_f32 v51, v127, v82, -v4
	v_fma_f32 v57, v133, v84, -v5
	;; [unrolled: 1-line block ×3, first 2 shown]
	ds_read2_b64 v[4:7], v64 offset1:100
	v_fmac_f32_e32 v38, v106, v24
	v_fmac_f32_e32 v19, v110, v28
	v_fma_f32 v24, v111, v28, -v29
	v_fmac_f32_e32 v15, v116, v26
	v_fma_f32 v18, v117, v26, -v18
	s_waitcnt vmcnt(2) lgkmcnt(4)
	v_mul_f32_e32 v26, v135, v11
	v_mul_f32_e32 v28, v134, v11
	v_mul_f32_e32 v20, v129, v79
	v_mul_f32_e32 v62, v87, v137
	s_waitcnt vmcnt(0) lgkmcnt(2)
	v_mul_f32_e32 v29, v97, v98
	v_fmac_f32_e32 v26, v134, v10
	v_fma_f32 v10, v135, v10, -v28
	s_waitcnt lgkmcnt(1)
	v_mul_f32_e32 v28, v95, v3
	v_mul_f32_e32 v23, v123, v81
	v_fmac_f32_e32 v20, v128, v78
	v_fmac_f32_e32 v62, v86, v136
	v_fma_f32 v78, v96, v99, -v29
	v_fmac_f32_e32 v28, v94, v2
	v_fmac_f32_e32 v37, v114, v45
	v_fma_f32 v45, v115, v45, -v27
	v_fmac_f32_e32 v23, v122, v80
	v_mul_f32_e32 v27, v87, v136
	s_waitcnt lgkmcnt(0)
	v_add_f32_e32 v30, v5, v78
	v_add_f32_e32 v80, v28, v62
	v_mul_f32_e32 v2, v95, v2
	v_mul_f32_e32 v11, v141, v9
	v_fma_f32 v79, v86, v137, -v27
	v_add_f32_e32 v30, v30, v59
	v_add_f32_e32 v80, v80, v48
	v_mul_f32_e32 v27, v139, v91
	v_mul_f32_e32 v86, v140, v9
	;; [unrolled: 1-line block ×5, first 2 shown]
	v_add_f32_e32 v30, v30, v50
	v_add_f32_e32 v80, v80, v39
	v_fma_f32 v2, v94, v3, -v2
	v_add_f32_e32 v93, v60, v56
	v_add_f32_e32 v94, v79, v49
	v_mul_f32_e32 v63, v97, v99
	v_fmac_f32_e32 v27, v138, v90
	v_fma_f32 v9, v139, v90, -v9
	v_add_f32_e32 v3, v30, v46
	v_add_f32_e32 v30, v80, v35
	;; [unrolled: 1-line block ×5, first 2 shown]
	v_fma_f32 v93, -0.5, v93, v2
	v_fmac_f32_e32 v2, -0.5, v94
	v_sub_f32_e32 v94, v48, v39
	v_mul_f32_e32 v44, v133, v85
	v_fmac_f32_e32 v63, v96, v98
	v_fma_f32 v90, -0.5, v90, v28
	v_fmac_f32_e32 v28, -0.5, v91
	v_sub_f32_e32 v95, v60, v79
	v_sub_f32_e32 v96, v56, v49
	;; [unrolled: 1-line block ×4, first 2 shown]
	v_fmamk_f32 v99, v94, 0xbf737871, v2
	v_mul_f32_e32 v41, v127, v83
	v_fmac_f32_e32 v44, v132, v84
	v_fmac_f32_e32 v61, v100, v92
	v_fma_f32 v84, v101, v92, -v81
	v_sub_f32_e32 v91, v48, v62
	v_sub_f32_e32 v100, v39, v35
	v_add_f32_e32 v95, v95, v96
	v_sub_f32_e32 v96, v79, v49
	v_fmamk_f32 v101, v98, 0x3f737871, v28
	v_fmac_f32_e32 v99, 0x3f167918, v97
	v_fmac_f32_e32 v41, v126, v82
	v_mul_f32_e32 v58, v131, v89
	v_add_f32_e32 v91, v91, v100
	v_fmac_f32_e32 v101, 0xbf167918, v96
	v_fmac_f32_e32 v99, 0x3e9e377a, v95
	v_add_f32_e32 v29, v4, v63
	v_fmac_f32_e32 v58, v130, v88
	v_add_f32_e32 v81, v6, v61
	v_add_f32_e32 v82, v7, v84
	;; [unrolled: 1-line block ×4, first 2 shown]
	v_fmac_f32_e32 v101, 0x3e9e377a, v91
	v_mul_f32_e32 v103, 0xbf737871, v99
	v_mul_f32_e32 v99, 0x3e9e377a, v99
	v_sub_f32_e32 v104, v44, v61
	v_sub_f32_e32 v105, v34, v31
	v_add_f32_e32 v29, v29, v58
	v_add_f32_e32 v80, v80, v60
	;; [unrolled: 1-line block ×6, first 2 shown]
	v_sub_f32_e32 v92, v58, v63
	v_sub_f32_e32 v102, v40, v38
	v_fmac_f32_e32 v103, 0x3e9e377a, v101
	v_fmac_f32_e32 v99, 0x3f737871, v101
	v_add_f32_e32 v101, v104, v105
	v_add_f32_e32 v104, v37, v33
	;; [unrolled: 1-line block ×10, first 2 shown]
	v_sub_f32_e32 v100, v59, v78
	v_sub_f32_e32 v102, v50, v46
	v_add_f32_e32 v106, v57, v47
	v_add_f32_e32 v107, v45, v42
	;; [unrolled: 1-line block ×3, first 2 shown]
	v_fma_f32 v104, -0.5, v104, v27
	v_fmac_f32_e32 v27, -0.5, v105
	v_sub_f32_e32 v105, v37, v41
	v_sub_f32_e32 v109, v45, v51
	;; [unrolled: 1-line block ×6, first 2 shown]
	v_add_f32_e32 v29, v29, v38
	v_add_f32_e32 v85, v80, v49
	;; [unrolled: 1-line block ×7, first 2 shown]
	v_fma_f32 v102, -0.5, v106, v7
	v_add_f32_e32 v106, v84, v43
	v_fma_f32 v107, -0.5, v107, v9
	v_fmac_f32_e32 v9, -0.5, v108
	v_sub_f32_e32 v108, v37, v33
	v_sub_f32_e32 v111, v41, v32
	v_add_f32_e32 v109, v109, v110
	v_sub_f32_e32 v110, v51, v36
	v_sub_f32_e32 v116, v57, v84
	;; [unrolled: 1-line block ×3, first 2 shown]
	v_add_f32_e32 v105, v105, v114
	v_add_f32_e32 v114, v63, v38
	v_add_f32_e32 v118, v78, v46
	v_sub_f32_e32 v120, v78, v46
	v_sub_f32_e32 v122, v58, v40
	;; [unrolled: 1-line block ×4, first 2 shown]
	v_add_f32_e32 v35, v48, v35
	v_add_f32_e32 v40, v58, v40
	v_sub_f32_e32 v48, v78, v59
	v_sub_f32_e32 v46, v46, v50
	;; [unrolled: 1-line block ×7, first 2 shown]
	v_fmac_f32_e32 v7, -0.5, v106
	v_add_f32_e32 v106, v116, v117
	v_sub_f32_e32 v117, v59, v50
	v_add_f32_e32 v119, v61, v31
	v_sub_f32_e32 v127, v84, v43
	v_sub_f32_e32 v129, v61, v31
	;; [unrolled: 1-line block ×4, first 2 shown]
	v_fmamk_f32 v56, v97, 0x3f737871, v93
	v_fmac_f32_e32 v93, 0xbf737871, v97
	v_add_f32_e32 v50, v59, v50
	v_add_f32_e32 v46, v48, v46
	v_sub_f32_e32 v48, v84, v57
	v_sub_f32_e32 v43, v43, v47
	v_fmamk_f32 v41, v111, 0x3f737871, v107
	v_fmac_f32_e32 v107, 0xbf737871, v111
	v_sub_f32_e32 v42, v61, v44
	v_add_f32_e32 v33, v33, v36
	v_sub_f32_e32 v31, v31, v34
	v_add_f32_e32 v36, v37, v32
	v_add_f32_e32 v32, v44, v34
	v_fma_f32 v40, -0.5, v40, v4
	v_sub_f32_e32 v125, v44, v34
	v_add_f32_e32 v39, v60, v49
	v_fmamk_f32 v49, v96, 0xbf737871, v90
	v_fmac_f32_e32 v90, 0x3f737871, v96
	v_fmac_f32_e32 v93, 0xbf167918, v94
	v_sub_f32_e32 v60, v63, v58
	v_fmamk_f32 v45, v110, 0xbf737871, v104
	v_fmac_f32_e32 v104, 0x3f737871, v110
	v_fmac_f32_e32 v107, 0xbf167918, v108
	v_add_f32_e32 v34, v42, v31
	v_add_f32_e32 v37, v48, v43
	v_fma_f32 v42, -0.5, v50, v5
	v_fma_f32 v51, -0.5, v32, v6
	v_fmamk_f32 v43, v120, 0xbf737871, v40
	v_fmac_f32_e32 v40, 0x3f737871, v120
	v_fmac_f32_e32 v56, 0x3f167918, v94
	v_sub_f32_e32 v123, v57, v47
	v_fmac_f32_e32 v90, 0x3f167918, v98
	v_fmac_f32_e32 v93, 0x3e9e377a, v39
	v_add_f32_e32 v38, v60, v38
	v_fmac_f32_e32 v104, 0x3f167918, v112
	v_fmac_f32_e32 v107, 0x3e9e377a, v33
	v_fmamk_f32 v44, v124, 0x3f737871, v42
	v_fmac_f32_e32 v42, 0xbf737871, v124
	v_fmamk_f32 v47, v127, 0xbf737871, v51
	;; [unrolled: 2-line block ×3, first 2 shown]
	v_fmac_f32_e32 v102, 0xbf737871, v129
	v_fmac_f32_e32 v40, 0x3f167918, v117
	;; [unrolled: 1-line block ×7, first 2 shown]
	v_mul_f32_e32 v58, 0xbf167918, v93
	v_mul_f32_e32 v62, 0xbf4f1bbd, v93
	v_fmac_f32_e32 v104, 0x3e9e377a, v36
	v_mul_f32_e32 v48, 0xbf167918, v107
	v_mul_f32_e32 v50, 0xbf4f1bbd, v107
	v_fmac_f32_e32 v42, 0xbf167918, v122
	v_fmac_f32_e32 v51, 0x3f167918, v123
	;; [unrolled: 1-line block ×6, first 2 shown]
	v_mul_f32_e32 v35, 0xbf167918, v56
	v_fmac_f32_e32 v43, 0x3e9e377a, v38
	v_mul_f32_e32 v38, 0x3f4f1bbd, v56
	v_fmac_f32_e32 v45, 0xbf167918, v112
	v_fmac_f32_e32 v41, 0x3e9e377a, v33
	;; [unrolled: 1-line block ×15, first 2 shown]
	v_mul_f32_e32 v46, 0xbf167918, v41
	v_mul_f32_e32 v49, 0x3f4f1bbd, v41
	v_fmamk_f32 v113, v108, 0xbf737871, v9
	v_fma_f32 v114, -0.5, v114, v4
	v_fma_f32 v118, -0.5, v118, v5
	v_add_f32_e32 v4, v40, v58
	v_add_f32_e32 v5, v42, v62
	;; [unrolled: 1-line block ×4, first 2 shown]
	v_fmac_f32_e32 v47, 0x3e9e377a, v34
	v_fmac_f32_e32 v57, 0x3e9e377a, v37
	;; [unrolled: 1-line block ×4, first 2 shown]
	s_barrier
	buffer_gl0_inv
	v_fmamk_f32 v115, v112, 0x3f737871, v27
	v_fmac_f32_e32 v113, 0x3f167918, v111
	v_fma_f32 v119, -0.5, v119, v6
	ds_write2_b64 v68, v[4:5], v[31:32] offset0:48 offset1:148
	v_sub_f32_e32 v4, v43, v35
	v_sub_f32_e32 v5, v44, v38
	;; [unrolled: 1-line block ×4, first 2 shown]
	v_fmac_f32_e32 v11, v140, v8
	v_fmac_f32_e32 v115, 0xbf167918, v110
	;; [unrolled: 1-line block ×3, first 2 shown]
	v_fmamk_f32 v121, v117, 0x3f737871, v114
	v_fmamk_f32 v126, v122, 0xbf737871, v118
	v_fmamk_f32 v128, v123, 0x3f737871, v119
	v_fmamk_f32 v130, v125, 0xbf737871, v7
	ds_write2_b64 v66, v[4:5], v[31:32] offset0:8 offset1:108
	v_add_f32_e32 v5, v15, v14
	v_fma_f32 v8, v141, v8, -v86
	v_add_f32_e32 v86, v29, v30
	v_add_f32_e32 v87, v3, v85
	;; [unrolled: 1-line block ×4, first 2 shown]
	v_fmac_f32_e32 v115, 0x3e9e377a, v105
	v_mul_f32_e32 v116, 0xbf737871, v113
	v_mul_f32_e32 v113, 0x3e9e377a, v113
	v_fmac_f32_e32 v121, 0xbf167918, v120
	v_fmac_f32_e32 v126, 0x3f167918, v124
	;; [unrolled: 1-line block ×5, first 2 shown]
	v_add_f32_e32 v33, v25, v24
	v_add_f32_e32 v4, v10, v21
	v_fma_f32 v60, -0.5, v5, v11
	v_add_f32_e32 v5, v18, v16
	v_add_f32_e32 v36, v22, v13
	v_fmac_f32_e32 v116, 0x3e9e377a, v115
	v_fmac_f32_e32 v113, 0x3f737871, v115
	;; [unrolled: 1-line block ×6, first 2 shown]
	ds_write2_b64 v64, v[86:87], v[88:89] offset1:100
	v_fmac_f32_e32 v27, 0xbf737871, v112
	v_fmac_f32_e32 v9, 0xbf167918, v111
	v_fma_f32 v56, -0.5, v33, v1
	v_add_f32_e32 v59, v1, v10
	v_fmac_f32_e32 v1, -0.5, v4
	v_add_f32_e32 v4, v20, v12
	v_fma_f32 v63, -0.5, v5, v8
	v_add_f32_e32 v64, v8, v22
	v_fmac_f32_e32 v8, -0.5, v36
	v_sub_f32_e32 v66, v15, v14
	v_add_f32_e32 v86, v121, v103
	v_add_f32_e32 v87, v126, v99
	;; [unrolled: 1-line block ×4, first 2 shown]
	v_fmac_f32_e32 v7, 0x3f737871, v125
	v_fmac_f32_e32 v27, 0x3f167918, v110
	;; [unrolled: 1-line block ×3, first 2 shown]
	v_add_f32_e32 v61, v11, v20
	v_sub_f32_e32 v5, v18, v22
	v_sub_f32_e32 v37, v16, v13
	v_fmac_f32_e32 v11, -0.5, v4
	v_sub_f32_e32 v78, v18, v16
	v_fmamk_f32 v79, v66, 0xbf737871, v8
	v_fmac_f32_e32 v8, 0x3f737871, v66
	v_sub_f32_e32 v84, v20, v12
	v_fmac_f32_e32 v2, 0x3f737871, v94
	ds_write2_b64 v67, v[86:87], v[88:89] offset0:88 offset1:188
	v_fmac_f32_e32 v7, 0xbf167918, v129
	v_fmac_f32_e32 v27, 0x3e9e377a, v105
	v_mul_f32_e32 v6, 0xbe9e377a, v9
	v_sub_f32_e32 v31, v25, v10
	v_sub_f32_e32 v32, v24, v21
	;; [unrolled: 1-line block ×4, first 2 shown]
	v_add_f32_e32 v68, v5, v37
	v_sub_f32_e32 v86, v23, v19
	v_fmamk_f32 v87, v78, 0x3f737871, v11
	v_fmac_f32_e32 v11, 0xbf737871, v78
	v_sub_f32_e32 v88, v22, v13
	v_fmac_f32_e32 v8, 0xbf167918, v84
	v_fmac_f32_e32 v28, 0xbf737871, v98
	;; [unrolled: 1-line block ×5, first 2 shown]
	v_add_f32_e32 v67, v33, v34
	v_fmamk_f32 v89, v86, 0xbf737871, v1
	v_fmac_f32_e32 v1, 0x3f737871, v86
	v_sub_f32_e32 v90, v26, v17
	v_fmac_f32_e32 v11, 0x3f167918, v88
	v_fmac_f32_e32 v8, 0x3e9e377a, v68
	v_add_f32_e32 v93, v31, v32
	v_add_f32_e32 v32, v26, v17
	v_fmac_f32_e32 v28, 0x3f167918, v96
	v_fmac_f32_e32 v2, 0x3e9e377a, v95
	;; [unrolled: 1-line block ×3, first 2 shown]
	v_add_f32_e32 v4, v7, v6
	v_fmac_f32_e32 v1, 0xbf167918, v90
	v_fmac_f32_e32 v11, 0x3e9e377a, v67
	v_mul_f32_e32 v5, 0xbe9e377a, v8
	v_add_f32_e32 v31, v23, v19
	v_sub_f32_e32 v6, v7, v6
	v_fma_f32 v7, -0.5, v32, v0
	v_add_f32_e32 v32, v43, v35
	v_sub_f32_e32 v35, v3, v85
	v_fmac_f32_e32 v28, 0x3e9e377a, v91
	v_mul_f32_e32 v3, 0xbf737871, v2
	v_fmac_f32_e32 v118, 0xbf167918, v124
	v_mul_f32_e32 v2, 0xbe9e377a, v2
	v_fmac_f32_e32 v1, 0x3e9e377a, v93
	v_fmac_f32_e32 v5, 0x3f737871, v11
	v_fma_f32 v104, -0.5, v31, v0
	v_add_f32_e32 v0, v0, v26
	v_fmac_f32_e32 v118, 0x3e9e377a, v100
	v_fmac_f32_e32 v2, 0x3f737871, v28
	v_add_f32_e32 v31, v1, v5
	v_sub_f32_e32 v1, v1, v5
	v_sub_f32_e32 v34, v29, v30
	v_mul_f32_e32 v5, 0xbf737871, v9
	v_add_f32_e32 v29, v118, v2
	v_sub_f32_e32 v39, v118, v2
	v_add_f32_e32 v0, v0, v23
	v_sub_f32_e32 v2, v10, v21
	v_fmac_f32_e32 v5, 0xbe9e377a, v27
	v_add_f32_e32 v43, v57, v49
	v_sub_f32_e32 v49, v102, v50
	v_sub_f32_e32 v9, v26, v23
	;; [unrolled: 1-line block ×3, first 2 shown]
	v_add_f32_e32 v0, v0, v19
	v_fmamk_f32 v50, v2, 0xbf737871, v104
	v_sub_f32_e32 v30, v25, v24
	v_fmac_f32_e32 v104, 0x3f737871, v2
	v_add_f32_e32 v9, v9, v27
	v_sub_f32_e32 v23, v23, v26
	v_add_f32_e32 v26, v0, v17
	v_fmac_f32_e32 v50, 0xbf167918, v30
	v_fmac_f32_e32 v104, 0x3f167918, v30
	v_sub_f32_e32 v0, v19, v17
	v_fmamk_f32 v17, v30, 0x3f737871, v7
	v_fmac_f32_e32 v7, 0xbf737871, v30
	v_fmac_f32_e32 v50, 0x3e9e377a, v9
	;; [unrolled: 1-line block ×3, first 2 shown]
	v_add_f32_e32 v0, v23, v0
	v_add_f32_e32 v9, v59, v25
	v_sub_f32_e32 v10, v10, v25
	v_sub_f32_e32 v19, v21, v24
	v_fmamk_f32 v23, v90, 0x3f737871, v56
	v_fmac_f32_e32 v56, 0xbf737871, v90
	v_fmac_f32_e32 v17, 0xbf167918, v2
	;; [unrolled: 1-line block ×3, first 2 shown]
	v_add_f32_e32 v2, v9, v24
	v_add_f32_e32 v9, v10, v19
	v_fmac_f32_e32 v23, 0x3f167918, v86
	v_fmac_f32_e32 v56, 0xbf167918, v86
	;; [unrolled: 1-line block ×4, first 2 shown]
	v_add_f32_e32 v0, v61, v15
	v_fmac_f32_e32 v23, 0x3e9e377a, v9
	v_fmac_f32_e32 v56, 0x3e9e377a, v9
	v_sub_f32_e32 v9, v20, v15
	v_sub_f32_e32 v10, v12, v14
	v_fmamk_f32 v15, v88, 0xbf737871, v60
	v_fmac_f32_e32 v60, 0x3f737871, v88
	v_add_f32_e32 v0, v0, v14
	v_add_f32_e32 v14, v64, v18
	;; [unrolled: 1-line block ×3, first 2 shown]
	v_fmac_f32_e32 v15, 0xbf167918, v78
	v_fmac_f32_e32 v60, 0x3f167918, v78
	v_add_f32_e32 v10, v0, v12
	v_sub_f32_e32 v0, v22, v18
	v_fmamk_f32 v12, v84, 0x3f737871, v63
	v_fmac_f32_e32 v15, 0x3e9e377a, v9
	v_fmac_f32_e32 v60, 0x3e9e377a, v9
	v_sub_f32_e32 v9, v13, v16
	v_fmac_f32_e32 v63, 0xbf737871, v84
	v_fmac_f32_e32 v12, 0x3f167918, v66
	;; [unrolled: 1-line block ×4, first 2 shown]
	v_add_f32_e32 v0, v0, v9
	v_fmac_f32_e32 v119, 0xbf737871, v123
	v_add_f32_e32 v9, v14, v16
	v_mul_f32_e32 v8, 0xbf737871, v8
	v_fmac_f32_e32 v63, 0xbf167918, v66
	v_fmac_f32_e32 v12, 0x3e9e377a, v0
	;; [unrolled: 1-line block ×6, first 2 shown]
	v_add_f32_e32 v2, v2, v21
	v_add_f32_e32 v13, v9, v13
	v_fmac_f32_e32 v8, 0xbe9e377a, v11
	v_fmac_f32_e32 v63, 0x3e9e377a, v0
	v_mul_f32_e32 v14, 0xbf167918, v12
	v_mul_f32_e32 v16, 0x3f4f1bbd, v12
	v_fmac_f32_e32 v89, 0x3f167918, v90
	v_fmac_f32_e32 v87, 0x3e9e377a, v67
	v_mul_f32_e32 v18, 0xbf737871, v79
	v_mul_f32_e32 v19, 0x3e9e377a, v79
	v_fmac_f32_e32 v114, 0x3e9e377a, v92
	v_fmac_f32_e32 v3, 0xbe9e377a, v28
	;; [unrolled: 1-line block ×3, first 2 shown]
	v_add_f32_e32 v30, v7, v8
	v_sub_f32_e32 v0, v7, v8
	v_add_f32_e32 v7, v26, v10
	v_add_f32_e32 v8, v2, v13
	v_sub_f32_e32 v9, v26, v10
	v_sub_f32_e32 v10, v2, v13
	v_mul_f32_e32 v2, 0xbf167918, v63
	v_mul_f32_e32 v22, 0xbf4f1bbd, v63
	v_fmac_f32_e32 v14, 0x3f4f1bbd, v15
	v_fmac_f32_e32 v16, 0x3f167918, v15
	;; [unrolled: 1-line block ×5, first 2 shown]
	v_add_f32_e32 v33, v44, v38
	v_add_f32_e32 v28, v114, v3
	v_sub_f32_e32 v38, v114, v3
	v_add_f32_e32 v3, v119, v5
	v_sub_f32_e32 v5, v119, v5
	v_fmac_f32_e32 v2, 0xbf4f1bbd, v60
	v_fmac_f32_e32 v22, 0x3f167918, v60
	v_sub_f32_e32 v41, v42, v62
	v_add_f32_e32 v42, v47, v46
	v_add_f32_e32 v11, v50, v14
	;; [unrolled: 1-line block ×3, first 2 shown]
	v_sub_f32_e32 v13, v50, v14
	v_sub_f32_e32 v14, v23, v16
	v_add_f32_e32 v15, v17, v18
	v_add_f32_e32 v16, v89, v19
	v_sub_f32_e32 v36, v121, v103
	v_sub_f32_e32 v37, v126, v99
	;; [unrolled: 1-line block ×10, first 2 shown]
	v_add_f32_e32 v19, v104, v2
	v_add_f32_e32 v20, v56, v22
	v_sub_f32_e32 v21, v104, v2
	v_sub_f32_e32 v22, v56, v22
	ds_write2_b64 v53, v[38:39], v[5:6] offset0:96 offset1:196
	ds_write2_b64 v76, v[7:8], v[32:33] offset0:72 offset1:172
	;; [unrolled: 1-line block ×11, first 2 shown]
	s_waitcnt lgkmcnt(0)
	s_barrier
	buffer_gl0_inv
	s_and_saveexec_b32 s0, vcc_lo
	s_cbranch_execz .LBB0_19
; %bb.18:
	v_lshl_add_u32 v20, v52, 3, 0
	v_mov_b32_e32 v53, 0
	v_add_nc_u32_e32 v4, 0x64, v52
	v_add_co_u32 v21, vcc_lo, s2, v54
	ds_read2_b64 v[0:3], v20 offset1:100
	v_lshlrev_b64 v[6:7], 3, v[52:53]
	v_mov_b32_e32 v5, v53
	v_add_co_ci_u32_e32 v22, vcc_lo, s3, v55, vcc_lo
	v_add_nc_u32_e32 v14, 0x400, v20
	v_add_nc_u32_e32 v8, 0xc8, v52
	v_lshlrev_b64 v[4:5], 3, v[4:5]
	v_add_co_u32 v6, vcc_lo, v21, v6
	v_add_co_ci_u32_e32 v7, vcc_lo, v22, v7, vcc_lo
	v_add_nc_u32_e32 v10, 0x12c, v52
	v_mov_b32_e32 v9, v53
	v_mov_b32_e32 v11, v53
	v_add_nc_u32_e32 v17, 0x800, v20
	v_add_co_u32 v12, vcc_lo, v21, v4
	v_add_co_ci_u32_e32 v13, vcc_lo, v22, v5, vcc_lo
	s_waitcnt lgkmcnt(0)
	global_store_dwordx2 v[6:7], v[0:1], off
	ds_read2_b64 v[4:7], v14 offset0:72 offset1:172
	v_lshlrev_b64 v[0:1], 3, v[8:9]
	v_lshlrev_b64 v[14:15], 3, v[10:11]
	ds_read2_b64 v[8:11], v17 offset0:144 offset1:244
	v_add_nc_u32_e32 v16, 0x190, v52
	v_mov_b32_e32 v17, v53
	v_add_nc_u32_e32 v18, 0x1f4, v52
	v_add_co_u32 v0, vcc_lo, v21, v0
	v_add_co_ci_u32_e32 v1, vcc_lo, v22, v1, vcc_lo
	v_lshlrev_b64 v[16:17], 3, v[16:17]
	v_add_co_u32 v14, vcc_lo, v21, v14
	v_add_co_ci_u32_e32 v15, vcc_lo, v22, v15, vcc_lo
	v_mov_b32_e32 v19, v53
	v_add_co_u32 v16, vcc_lo, v21, v16
	v_add_co_ci_u32_e32 v17, vcc_lo, v22, v17, vcc_lo
	global_store_dwordx2 v[12:13], v[2:3], off
	s_waitcnt lgkmcnt(1)
	global_store_dwordx2 v[0:1], v[4:5], off
	global_store_dwordx2 v[14:15], v[6:7], off
	s_waitcnt lgkmcnt(0)
	global_store_dwordx2 v[16:17], v[8:9], off
	v_lshlrev_b64 v[0:1], 3, v[18:19]
	v_add_nc_u32_e32 v2, 0x1000, v20
	v_add_nc_u32_e32 v4, 0x258, v52
	v_mov_b32_e32 v5, v53
	v_add_nc_u32_e32 v6, 0x2bc, v52
	v_mov_b32_e32 v7, v53
	v_add_nc_u32_e32 v17, 0x1800, v20
	v_add_co_u32 v8, vcc_lo, v21, v0
	v_add_co_ci_u32_e32 v9, vcc_lo, v22, v1, vcc_lo
	ds_read2_b64 v[0:3], v2 offset0:88 offset1:188
	v_lshlrev_b64 v[12:13], 3, v[4:5]
	v_lshlrev_b64 v[14:15], 3, v[6:7]
	ds_read2_b64 v[4:7], v17 offset0:32 offset1:132
	v_add_nc_u32_e32 v16, 0x320, v52
	v_mov_b32_e32 v17, v53
	v_add_nc_u32_e32 v18, 0x384, v52
	v_add_co_u32 v12, vcc_lo, v21, v12
	v_add_co_ci_u32_e32 v13, vcc_lo, v22, v13, vcc_lo
	v_lshlrev_b64 v[16:17], 3, v[16:17]
	v_add_co_u32 v14, vcc_lo, v21, v14
	v_add_co_ci_u32_e32 v15, vcc_lo, v22, v15, vcc_lo
	v_add_co_u32 v16, vcc_lo, v21, v16
	v_add_co_ci_u32_e32 v17, vcc_lo, v22, v17, vcc_lo
	global_store_dwordx2 v[8:9], v[10:11], off
	s_waitcnt lgkmcnt(1)
	global_store_dwordx2 v[12:13], v[0:1], off
	global_store_dwordx2 v[14:15], v[2:3], off
	s_waitcnt lgkmcnt(0)
	global_store_dwordx2 v[16:17], v[4:5], off
	v_lshlrev_b64 v[0:1], 3, v[18:19]
	v_add_nc_u32_e32 v2, 0x1c00, v20
	v_add_nc_u32_e32 v8, 0x44c, v52
	v_mov_b32_e32 v9, v53
	v_add_nc_u32_e32 v10, 0x2400, v20
	v_add_nc_u32_e32 v4, 0x3e8, v52
	v_mov_b32_e32 v5, v53
	v_add_co_u32 v12, vcc_lo, v21, v0
	v_add_co_ci_u32_e32 v13, vcc_lo, v22, v1, vcc_lo
	ds_read2_b64 v[0:3], v2 offset0:104 offset1:204
	v_lshlrev_b64 v[14:15], 3, v[8:9]
	ds_read2_b64 v[8:11], v10 offset0:48 offset1:148
	v_lshlrev_b64 v[4:5], 3, v[4:5]
	v_add_nc_u32_e32 v16, 0x4b0, v52
	v_mov_b32_e32 v17, v53
	v_add_nc_u32_e32 v18, 0x514, v52
	v_add_co_u32 v4, vcc_lo, v21, v4
	v_lshlrev_b64 v[16:17], 3, v[16:17]
	v_add_co_ci_u32_e32 v5, vcc_lo, v22, v5, vcc_lo
	v_add_co_u32 v14, vcc_lo, v21, v14
	v_add_co_ci_u32_e32 v15, vcc_lo, v22, v15, vcc_lo
	v_add_co_u32 v16, vcc_lo, v21, v16
	v_add_co_ci_u32_e32 v17, vcc_lo, v22, v17, vcc_lo
	global_store_dwordx2 v[12:13], v[6:7], off
	s_waitcnt lgkmcnt(1)
	global_store_dwordx2 v[4:5], v[0:1], off
	global_store_dwordx2 v[14:15], v[2:3], off
	s_waitcnt lgkmcnt(0)
	global_store_dwordx2 v[16:17], v[8:9], off
	v_lshlrev_b64 v[0:1], 3, v[18:19]
	v_add_nc_u32_e32 v2, 0x2800, v20
	v_add_nc_u32_e32 v4, 0x578, v52
	v_mov_b32_e32 v5, v53
	v_add_nc_u32_e32 v6, 0x5dc, v52
	v_mov_b32_e32 v7, v53
	v_add_nc_u32_e32 v17, 0x3000, v20
	v_add_co_u32 v8, vcc_lo, v21, v0
	v_add_co_ci_u32_e32 v9, vcc_lo, v22, v1, vcc_lo
	ds_read2_b64 v[0:3], v2 offset0:120 offset1:220
	v_lshlrev_b64 v[12:13], 3, v[4:5]
	v_lshlrev_b64 v[14:15], 3, v[6:7]
	ds_read2_b64 v[4:7], v17 offset0:64 offset1:164
	v_add_nc_u32_e32 v16, 0x640, v52
	v_mov_b32_e32 v17, v53
	v_add_nc_u32_e32 v18, 0x6a4, v52
	v_add_co_u32 v12, vcc_lo, v21, v12
	v_add_co_ci_u32_e32 v13, vcc_lo, v22, v13, vcc_lo
	v_lshlrev_b64 v[16:17], 3, v[16:17]
	v_add_co_u32 v14, vcc_lo, v21, v14
	v_add_co_ci_u32_e32 v15, vcc_lo, v22, v15, vcc_lo
	v_add_co_u32 v16, vcc_lo, v21, v16
	v_add_co_ci_u32_e32 v17, vcc_lo, v22, v17, vcc_lo
	global_store_dwordx2 v[8:9], v[10:11], off
	s_waitcnt lgkmcnt(1)
	global_store_dwordx2 v[12:13], v[0:1], off
	global_store_dwordx2 v[14:15], v[2:3], off
	s_waitcnt lgkmcnt(0)
	global_store_dwordx2 v[16:17], v[4:5], off
	v_lshlrev_b64 v[0:1], 3, v[18:19]
	v_add_nc_u32_e32 v2, 0x3800, v20
	v_add_nc_u32_e32 v8, 0x76c, v52
	v_mov_b32_e32 v9, v53
	v_add_nc_u32_e32 v10, 0x3c00, v20
	v_add_nc_u32_e32 v4, 0x708, v52
	v_mov_b32_e32 v5, v53
	v_add_co_u32 v12, vcc_lo, v21, v0
	v_add_co_ci_u32_e32 v13, vcc_lo, v22, v1, vcc_lo
	ds_read2_b64 v[0:3], v2 offset0:8 offset1:108
	v_lshlrev_b64 v[14:15], 3, v[8:9]
	ds_read2_b64 v[8:11], v10 offset0:80 offset1:180
	v_lshlrev_b64 v[4:5], 3, v[4:5]
	v_add_nc_u32_e32 v16, 0x7d0, v52
	v_mov_b32_e32 v17, v53
	v_add_nc_u32_e32 v18, 0x834, v52
	v_add_co_u32 v4, vcc_lo, v21, v4
	v_lshlrev_b64 v[16:17], 3, v[16:17]
	v_add_co_ci_u32_e32 v5, vcc_lo, v22, v5, vcc_lo
	v_add_co_u32 v14, vcc_lo, v21, v14
	v_add_co_ci_u32_e32 v15, vcc_lo, v22, v15, vcc_lo
	v_add_co_u32 v16, vcc_lo, v21, v16
	v_add_co_ci_u32_e32 v17, vcc_lo, v22, v17, vcc_lo
	global_store_dwordx2 v[12:13], v[6:7], off
	s_waitcnt lgkmcnt(1)
	global_store_dwordx2 v[4:5], v[0:1], off
	global_store_dwordx2 v[14:15], v[2:3], off
	s_waitcnt lgkmcnt(0)
	global_store_dwordx2 v[16:17], v[8:9], off
	v_lshlrev_b64 v[0:1], 3, v[18:19]
	v_add_nc_u32_e32 v2, 0x4000, v20
	v_add_nc_u32_e32 v4, 0x898, v52
	v_mov_b32_e32 v5, v53
	v_add_nc_u32_e32 v6, 0x8fc, v52
	v_mov_b32_e32 v7, v53
	v_add_nc_u32_e32 v17, 0x4800, v20
	v_add_co_u32 v8, vcc_lo, v21, v0
	v_add_co_ci_u32_e32 v9, vcc_lo, v22, v1, vcc_lo
	ds_read2_b64 v[0:3], v2 offset0:152 offset1:252
	v_lshlrev_b64 v[12:13], 3, v[4:5]
	v_lshlrev_b64 v[14:15], 3, v[6:7]
	ds_read2_b64 v[4:7], v17 offset0:96 offset1:196
	v_add_nc_u32_e32 v16, 0x960, v52
	v_mov_b32_e32 v17, v53
	v_add_nc_u32_e32 v18, 0x9c4, v52
	v_add_co_u32 v12, vcc_lo, v21, v12
	v_add_co_ci_u32_e32 v13, vcc_lo, v22, v13, vcc_lo
	v_lshlrev_b64 v[16:17], 3, v[16:17]
	v_add_co_u32 v14, vcc_lo, v21, v14
	v_add_co_ci_u32_e32 v15, vcc_lo, v22, v15, vcc_lo
	v_add_co_u32 v16, vcc_lo, v21, v16
	v_add_co_ci_u32_e32 v17, vcc_lo, v22, v17, vcc_lo
	global_store_dwordx2 v[8:9], v[10:11], off
	s_waitcnt lgkmcnt(1)
	global_store_dwordx2 v[12:13], v[0:1], off
	global_store_dwordx2 v[14:15], v[2:3], off
	s_waitcnt lgkmcnt(0)
	global_store_dwordx2 v[16:17], v[4:5], off
	v_lshlrev_b64 v[0:1], 3, v[18:19]
	v_add_nc_u32_e32 v2, 0x5000, v20
	v_add_nc_u32_e32 v4, 0xa28, v52
	v_mov_b32_e32 v5, v53
	v_add_nc_u32_e32 v8, 0xa8c, v52
	v_mov_b32_e32 v9, v53
	v_add_nc_u32_e32 v10, 0x5400, v20
	v_add_co_u32 v12, vcc_lo, v21, v0
	v_add_co_ci_u32_e32 v13, vcc_lo, v22, v1, vcc_lo
	ds_read2_b64 v[0:3], v2 offset0:40 offset1:140
	v_lshlrev_b64 v[4:5], 3, v[4:5]
	v_lshlrev_b64 v[14:15], 3, v[8:9]
	v_add_nc_u32_e32 v16, 0xaf0, v52
	v_mov_b32_e32 v17, v53
	ds_read2_b64 v[8:11], v10 offset0:112 offset1:212
	v_add_nc_u32_e32 v52, 0xb54, v52
	v_add_co_u32 v4, vcc_lo, v21, v4
	v_lshlrev_b64 v[16:17], 3, v[16:17]
	v_add_co_ci_u32_e32 v5, vcc_lo, v22, v5, vcc_lo
	v_add_co_u32 v14, vcc_lo, v21, v14
	v_lshlrev_b64 v[18:19], 3, v[52:53]
	v_add_co_ci_u32_e32 v15, vcc_lo, v22, v15, vcc_lo
	v_add_co_u32 v16, vcc_lo, v21, v16
	v_add_co_ci_u32_e32 v17, vcc_lo, v22, v17, vcc_lo
	v_add_co_u32 v18, vcc_lo, v21, v18
	v_add_co_ci_u32_e32 v19, vcc_lo, v22, v19, vcc_lo
	global_store_dwordx2 v[12:13], v[6:7], off
	s_waitcnt lgkmcnt(1)
	global_store_dwordx2 v[4:5], v[0:1], off
	global_store_dwordx2 v[14:15], v[2:3], off
	s_waitcnt lgkmcnt(0)
	global_store_dwordx2 v[16:17], v[8:9], off
	global_store_dwordx2 v[18:19], v[10:11], off
.LBB0_19:
	s_endpgm
	.section	.rodata,"a",@progbits
	.p2align	6, 0x0
	.amdhsa_kernel fft_rtc_back_len3000_factors_10_3_10_10_wgs_100_tpt_100_halfLds_sp_ip_CI_unitstride_sbrr_C2R_dirReg
		.amdhsa_group_segment_fixed_size 0
		.amdhsa_private_segment_fixed_size 0
		.amdhsa_kernarg_size 88
		.amdhsa_user_sgpr_count 6
		.amdhsa_user_sgpr_private_segment_buffer 1
		.amdhsa_user_sgpr_dispatch_ptr 0
		.amdhsa_user_sgpr_queue_ptr 0
		.amdhsa_user_sgpr_kernarg_segment_ptr 1
		.amdhsa_user_sgpr_dispatch_id 0
		.amdhsa_user_sgpr_flat_scratch_init 0
		.amdhsa_user_sgpr_private_segment_size 0
		.amdhsa_wavefront_size32 1
		.amdhsa_uses_dynamic_stack 0
		.amdhsa_system_sgpr_private_segment_wavefront_offset 0
		.amdhsa_system_sgpr_workgroup_id_x 1
		.amdhsa_system_sgpr_workgroup_id_y 0
		.amdhsa_system_sgpr_workgroup_id_z 0
		.amdhsa_system_sgpr_workgroup_info 0
		.amdhsa_system_vgpr_workitem_id 0
		.amdhsa_next_free_vgpr 155
		.amdhsa_next_free_sgpr 21
		.amdhsa_reserve_vcc 1
		.amdhsa_reserve_flat_scratch 0
		.amdhsa_float_round_mode_32 0
		.amdhsa_float_round_mode_16_64 0
		.amdhsa_float_denorm_mode_32 3
		.amdhsa_float_denorm_mode_16_64 3
		.amdhsa_dx10_clamp 1
		.amdhsa_ieee_mode 1
		.amdhsa_fp16_overflow 0
		.amdhsa_workgroup_processor_mode 1
		.amdhsa_memory_ordered 1
		.amdhsa_forward_progress 0
		.amdhsa_shared_vgpr_count 0
		.amdhsa_exception_fp_ieee_invalid_op 0
		.amdhsa_exception_fp_denorm_src 0
		.amdhsa_exception_fp_ieee_div_zero 0
		.amdhsa_exception_fp_ieee_overflow 0
		.amdhsa_exception_fp_ieee_underflow 0
		.amdhsa_exception_fp_ieee_inexact 0
		.amdhsa_exception_int_div_zero 0
	.end_amdhsa_kernel
	.text
.Lfunc_end0:
	.size	fft_rtc_back_len3000_factors_10_3_10_10_wgs_100_tpt_100_halfLds_sp_ip_CI_unitstride_sbrr_C2R_dirReg, .Lfunc_end0-fft_rtc_back_len3000_factors_10_3_10_10_wgs_100_tpt_100_halfLds_sp_ip_CI_unitstride_sbrr_C2R_dirReg
                                        ; -- End function
	.section	.AMDGPU.csdata,"",@progbits
; Kernel info:
; codeLenInByte = 18716
; NumSgprs: 23
; NumVgprs: 155
; ScratchSize: 0
; MemoryBound: 0
; FloatMode: 240
; IeeeMode: 1
; LDSByteSize: 0 bytes/workgroup (compile time only)
; SGPRBlocks: 2
; VGPRBlocks: 19
; NumSGPRsForWavesPerEU: 23
; NumVGPRsForWavesPerEU: 155
; Occupancy: 6
; WaveLimiterHint : 1
; COMPUTE_PGM_RSRC2:SCRATCH_EN: 0
; COMPUTE_PGM_RSRC2:USER_SGPR: 6
; COMPUTE_PGM_RSRC2:TRAP_HANDLER: 0
; COMPUTE_PGM_RSRC2:TGID_X_EN: 1
; COMPUTE_PGM_RSRC2:TGID_Y_EN: 0
; COMPUTE_PGM_RSRC2:TGID_Z_EN: 0
; COMPUTE_PGM_RSRC2:TIDIG_COMP_CNT: 0
	.text
	.p2alignl 6, 3214868480
	.fill 48, 4, 3214868480
	.type	__hip_cuid_3394901aa5479a6a,@object ; @__hip_cuid_3394901aa5479a6a
	.section	.bss,"aw",@nobits
	.globl	__hip_cuid_3394901aa5479a6a
__hip_cuid_3394901aa5479a6a:
	.byte	0                               ; 0x0
	.size	__hip_cuid_3394901aa5479a6a, 1

	.ident	"AMD clang version 19.0.0git (https://github.com/RadeonOpenCompute/llvm-project roc-6.4.0 25133 c7fe45cf4b819c5991fe208aaa96edf142730f1d)"
	.section	".note.GNU-stack","",@progbits
	.addrsig
	.addrsig_sym __hip_cuid_3394901aa5479a6a
	.amdgpu_metadata
---
amdhsa.kernels:
  - .args:
      - .actual_access:  read_only
        .address_space:  global
        .offset:         0
        .size:           8
        .value_kind:     global_buffer
      - .offset:         8
        .size:           8
        .value_kind:     by_value
      - .actual_access:  read_only
        .address_space:  global
        .offset:         16
        .size:           8
        .value_kind:     global_buffer
      - .actual_access:  read_only
        .address_space:  global
        .offset:         24
        .size:           8
        .value_kind:     global_buffer
      - .offset:         32
        .size:           8
        .value_kind:     by_value
      - .actual_access:  read_only
        .address_space:  global
        .offset:         40
        .size:           8
        .value_kind:     global_buffer
      - .actual_access:  read_only
        .address_space:  global
        .offset:         48
        .size:           8
        .value_kind:     global_buffer
      - .offset:         56
        .size:           4
        .value_kind:     by_value
      - .actual_access:  read_only
        .address_space:  global
        .offset:         64
        .size:           8
        .value_kind:     global_buffer
      - .actual_access:  read_only
        .address_space:  global
        .offset:         72
        .size:           8
        .value_kind:     global_buffer
      - .address_space:  global
        .offset:         80
        .size:           8
        .value_kind:     global_buffer
    .group_segment_fixed_size: 0
    .kernarg_segment_align: 8
    .kernarg_segment_size: 88
    .language:       OpenCL C
    .language_version:
      - 2
      - 0
    .max_flat_workgroup_size: 100
    .name:           fft_rtc_back_len3000_factors_10_3_10_10_wgs_100_tpt_100_halfLds_sp_ip_CI_unitstride_sbrr_C2R_dirReg
    .private_segment_fixed_size: 0
    .sgpr_count:     23
    .sgpr_spill_count: 0
    .symbol:         fft_rtc_back_len3000_factors_10_3_10_10_wgs_100_tpt_100_halfLds_sp_ip_CI_unitstride_sbrr_C2R_dirReg.kd
    .uniform_work_group_size: 1
    .uses_dynamic_stack: false
    .vgpr_count:     155
    .vgpr_spill_count: 0
    .wavefront_size: 32
    .workgroup_processor_mode: 1
amdhsa.target:   amdgcn-amd-amdhsa--gfx1030
amdhsa.version:
  - 1
  - 2
...

	.end_amdgpu_metadata
